;; amdgpu-corpus repo=ROCm/rocFFT kind=compiled arch=gfx906 opt=O3
	.text
	.amdgcn_target "amdgcn-amd-amdhsa--gfx906"
	.amdhsa_code_object_version 6
	.protected	fft_rtc_back_len2700_factors_3_10_10_3_3_wgs_90_tpt_90_halfLds_sp_ip_CI_unitstride_sbrr_R2C_dirReg ; -- Begin function fft_rtc_back_len2700_factors_3_10_10_3_3_wgs_90_tpt_90_halfLds_sp_ip_CI_unitstride_sbrr_R2C_dirReg
	.globl	fft_rtc_back_len2700_factors_3_10_10_3_3_wgs_90_tpt_90_halfLds_sp_ip_CI_unitstride_sbrr_R2C_dirReg
	.p2align	8
	.type	fft_rtc_back_len2700_factors_3_10_10_3_3_wgs_90_tpt_90_halfLds_sp_ip_CI_unitstride_sbrr_R2C_dirReg,@function
fft_rtc_back_len2700_factors_3_10_10_3_3_wgs_90_tpt_90_halfLds_sp_ip_CI_unitstride_sbrr_R2C_dirReg: ; @fft_rtc_back_len2700_factors_3_10_10_3_3_wgs_90_tpt_90_halfLds_sp_ip_CI_unitstride_sbrr_R2C_dirReg
; %bb.0:
	s_load_dwordx2 s[2:3], s[4:5], 0x50
	s_load_dwordx4 s[8:11], s[4:5], 0x0
	s_load_dwordx2 s[12:13], s[4:5], 0x18
	v_mul_u32_u24_e32 v1, 0x2d9, v0
	v_add_u32_sdwa v5, s6, v1 dst_sel:DWORD dst_unused:UNUSED_PAD src0_sel:DWORD src1_sel:WORD_1
	v_mov_b32_e32 v3, 0
	s_waitcnt lgkmcnt(0)
	v_cmp_lt_u64_e64 s[0:1], s[10:11], 2
	v_mov_b32_e32 v1, 0
	v_mov_b32_e32 v6, v3
	s_and_b64 vcc, exec, s[0:1]
	v_mov_b32_e32 v2, 0
	s_cbranch_vccnz .LBB0_8
; %bb.1:
	s_load_dwordx2 s[0:1], s[4:5], 0x10
	s_add_u32 s6, s12, 8
	s_addc_u32 s7, s13, 0
	v_mov_b32_e32 v1, 0
	v_mov_b32_e32 v2, 0
	s_waitcnt lgkmcnt(0)
	s_add_u32 s14, s0, 8
	s_addc_u32 s15, s1, 0
	s_mov_b64 s[16:17], 1
.LBB0_2:                                ; =>This Inner Loop Header: Depth=1
	s_load_dwordx2 s[18:19], s[14:15], 0x0
                                        ; implicit-def: $vgpr7_vgpr8
	s_waitcnt lgkmcnt(0)
	v_or_b32_e32 v4, s19, v6
	v_cmp_ne_u64_e32 vcc, 0, v[3:4]
	s_and_saveexec_b64 s[0:1], vcc
	s_xor_b64 s[20:21], exec, s[0:1]
	s_cbranch_execz .LBB0_4
; %bb.3:                                ;   in Loop: Header=BB0_2 Depth=1
	v_cvt_f32_u32_e32 v4, s18
	v_cvt_f32_u32_e32 v7, s19
	s_sub_u32 s0, 0, s18
	s_subb_u32 s1, 0, s19
	v_mac_f32_e32 v4, 0x4f800000, v7
	v_rcp_f32_e32 v4, v4
	v_mul_f32_e32 v4, 0x5f7ffffc, v4
	v_mul_f32_e32 v7, 0x2f800000, v4
	v_trunc_f32_e32 v7, v7
	v_mac_f32_e32 v4, 0xcf800000, v7
	v_cvt_u32_f32_e32 v7, v7
	v_cvt_u32_f32_e32 v4, v4
	v_mul_lo_u32 v8, s0, v7
	v_mul_hi_u32 v9, s0, v4
	v_mul_lo_u32 v11, s1, v4
	v_mul_lo_u32 v10, s0, v4
	v_add_u32_e32 v8, v9, v8
	v_add_u32_e32 v8, v8, v11
	v_mul_hi_u32 v9, v4, v10
	v_mul_lo_u32 v11, v4, v8
	v_mul_hi_u32 v13, v4, v8
	v_mul_hi_u32 v12, v7, v10
	v_mul_lo_u32 v10, v7, v10
	v_mul_hi_u32 v14, v7, v8
	v_add_co_u32_e32 v9, vcc, v9, v11
	v_addc_co_u32_e32 v11, vcc, 0, v13, vcc
	v_mul_lo_u32 v8, v7, v8
	v_add_co_u32_e32 v9, vcc, v9, v10
	v_addc_co_u32_e32 v9, vcc, v11, v12, vcc
	v_addc_co_u32_e32 v10, vcc, 0, v14, vcc
	v_add_co_u32_e32 v8, vcc, v9, v8
	v_addc_co_u32_e32 v9, vcc, 0, v10, vcc
	v_add_co_u32_e32 v4, vcc, v4, v8
	v_addc_co_u32_e32 v7, vcc, v7, v9, vcc
	v_mul_lo_u32 v8, s0, v7
	v_mul_hi_u32 v9, s0, v4
	v_mul_lo_u32 v10, s1, v4
	v_mul_lo_u32 v11, s0, v4
	v_add_u32_e32 v8, v9, v8
	v_add_u32_e32 v8, v8, v10
	v_mul_lo_u32 v12, v4, v8
	v_mul_hi_u32 v13, v4, v11
	v_mul_hi_u32 v14, v4, v8
	;; [unrolled: 1-line block ×3, first 2 shown]
	v_mul_lo_u32 v11, v7, v11
	v_mul_hi_u32 v9, v7, v8
	v_add_co_u32_e32 v12, vcc, v13, v12
	v_addc_co_u32_e32 v13, vcc, 0, v14, vcc
	v_mul_lo_u32 v8, v7, v8
	v_add_co_u32_e32 v11, vcc, v12, v11
	v_addc_co_u32_e32 v10, vcc, v13, v10, vcc
	v_addc_co_u32_e32 v9, vcc, 0, v9, vcc
	v_add_co_u32_e32 v8, vcc, v10, v8
	v_addc_co_u32_e32 v9, vcc, 0, v9, vcc
	v_add_co_u32_e32 v4, vcc, v4, v8
	v_addc_co_u32_e32 v9, vcc, v7, v9, vcc
	v_mad_u64_u32 v[7:8], s[0:1], v5, v9, 0
	v_mul_hi_u32 v10, v5, v4
	v_add_co_u32_e32 v11, vcc, v10, v7
	v_addc_co_u32_e32 v12, vcc, 0, v8, vcc
	v_mad_u64_u32 v[7:8], s[0:1], v6, v4, 0
	v_mad_u64_u32 v[9:10], s[0:1], v6, v9, 0
	v_add_co_u32_e32 v4, vcc, v11, v7
	v_addc_co_u32_e32 v4, vcc, v12, v8, vcc
	v_addc_co_u32_e32 v7, vcc, 0, v10, vcc
	v_add_co_u32_e32 v4, vcc, v4, v9
	v_addc_co_u32_e32 v9, vcc, 0, v7, vcc
	v_mul_lo_u32 v10, s19, v4
	v_mul_lo_u32 v11, s18, v9
	v_mad_u64_u32 v[7:8], s[0:1], s18, v4, 0
	v_add3_u32 v8, v8, v11, v10
	v_sub_u32_e32 v10, v6, v8
	v_mov_b32_e32 v11, s19
	v_sub_co_u32_e32 v7, vcc, v5, v7
	v_subb_co_u32_e64 v10, s[0:1], v10, v11, vcc
	v_subrev_co_u32_e64 v11, s[0:1], s18, v7
	v_subbrev_co_u32_e64 v10, s[0:1], 0, v10, s[0:1]
	v_cmp_le_u32_e64 s[0:1], s19, v10
	v_cndmask_b32_e64 v12, 0, -1, s[0:1]
	v_cmp_le_u32_e64 s[0:1], s18, v11
	v_cndmask_b32_e64 v11, 0, -1, s[0:1]
	v_cmp_eq_u32_e64 s[0:1], s19, v10
	v_cndmask_b32_e64 v10, v12, v11, s[0:1]
	v_add_co_u32_e64 v11, s[0:1], 2, v4
	v_addc_co_u32_e64 v12, s[0:1], 0, v9, s[0:1]
	v_add_co_u32_e64 v13, s[0:1], 1, v4
	v_addc_co_u32_e64 v14, s[0:1], 0, v9, s[0:1]
	v_subb_co_u32_e32 v8, vcc, v6, v8, vcc
	v_cmp_ne_u32_e64 s[0:1], 0, v10
	v_cmp_le_u32_e32 vcc, s19, v8
	v_cndmask_b32_e64 v10, v14, v12, s[0:1]
	v_cndmask_b32_e64 v12, 0, -1, vcc
	v_cmp_le_u32_e32 vcc, s18, v7
	v_cndmask_b32_e64 v7, 0, -1, vcc
	v_cmp_eq_u32_e32 vcc, s19, v8
	v_cndmask_b32_e32 v7, v12, v7, vcc
	v_cmp_ne_u32_e32 vcc, 0, v7
	v_cndmask_b32_e64 v7, v13, v11, s[0:1]
	v_cndmask_b32_e32 v8, v9, v10, vcc
	v_cndmask_b32_e32 v7, v4, v7, vcc
.LBB0_4:                                ;   in Loop: Header=BB0_2 Depth=1
	s_andn2_saveexec_b64 s[0:1], s[20:21]
	s_cbranch_execz .LBB0_6
; %bb.5:                                ;   in Loop: Header=BB0_2 Depth=1
	v_cvt_f32_u32_e32 v4, s18
	s_sub_i32 s20, 0, s18
	v_rcp_iflag_f32_e32 v4, v4
	v_mul_f32_e32 v4, 0x4f7ffffe, v4
	v_cvt_u32_f32_e32 v4, v4
	v_mul_lo_u32 v7, s20, v4
	v_mul_hi_u32 v7, v4, v7
	v_add_u32_e32 v4, v4, v7
	v_mul_hi_u32 v4, v5, v4
	v_mul_lo_u32 v7, v4, s18
	v_add_u32_e32 v8, 1, v4
	v_sub_u32_e32 v7, v5, v7
	v_subrev_u32_e32 v9, s18, v7
	v_cmp_le_u32_e32 vcc, s18, v7
	v_cndmask_b32_e32 v7, v7, v9, vcc
	v_cndmask_b32_e32 v4, v4, v8, vcc
	v_add_u32_e32 v8, 1, v4
	v_cmp_le_u32_e32 vcc, s18, v7
	v_cndmask_b32_e32 v7, v4, v8, vcc
	v_mov_b32_e32 v8, v3
.LBB0_6:                                ;   in Loop: Header=BB0_2 Depth=1
	s_or_b64 exec, exec, s[0:1]
	v_mul_lo_u32 v4, v8, s18
	v_mul_lo_u32 v11, v7, s19
	v_mad_u64_u32 v[9:10], s[0:1], v7, s18, 0
	s_load_dwordx2 s[0:1], s[6:7], 0x0
	s_add_u32 s16, s16, 1
	v_add3_u32 v4, v10, v11, v4
	v_sub_co_u32_e32 v5, vcc, v5, v9
	v_subb_co_u32_e32 v4, vcc, v6, v4, vcc
	s_waitcnt lgkmcnt(0)
	v_mul_lo_u32 v4, s0, v4
	v_mul_lo_u32 v6, s1, v5
	v_mad_u64_u32 v[1:2], s[0:1], s0, v5, v[1:2]
	s_addc_u32 s17, s17, 0
	s_add_u32 s6, s6, 8
	v_add3_u32 v2, v6, v2, v4
	v_mov_b32_e32 v4, s10
	v_mov_b32_e32 v5, s11
	s_addc_u32 s7, s7, 0
	v_cmp_ge_u64_e32 vcc, s[16:17], v[4:5]
	s_add_u32 s14, s14, 8
	s_addc_u32 s15, s15, 0
	s_cbranch_vccnz .LBB0_9
; %bb.7:                                ;   in Loop: Header=BB0_2 Depth=1
	v_mov_b32_e32 v5, v7
	v_mov_b32_e32 v6, v8
	s_branch .LBB0_2
.LBB0_8:
	v_mov_b32_e32 v8, v6
	v_mov_b32_e32 v7, v5
.LBB0_9:
	s_lshl_b64 s[0:1], s[10:11], 3
	s_add_u32 s0, s12, s0
	s_addc_u32 s1, s13, s1
	s_load_dwordx2 s[6:7], s[0:1], 0x0
	s_load_dwordx2 s[10:11], s[4:5], 0x20
                                        ; implicit-def: $vgpr32
                                        ; implicit-def: $vgpr43
                                        ; implicit-def: $vgpr42
                                        ; implicit-def: $vgpr37
                                        ; implicit-def: $vgpr39
                                        ; implicit-def: $vgpr41
                                        ; implicit-def: $vgpr36
                                        ; implicit-def: $vgpr35
                                        ; implicit-def: $vgpr34
	s_waitcnt lgkmcnt(0)
	v_mad_u64_u32 v[1:2], s[0:1], s6, v7, v[1:2]
	s_mov_b32 s0, 0x2d82d83
	v_mul_lo_u32 v3, s6, v8
	v_mul_lo_u32 v4, s7, v7
	v_mul_hi_u32 v5, v0, s0
	v_cmp_gt_u64_e64 s[0:1], s[10:11], v[7:8]
	v_cmp_le_u64_e32 vcc, s[10:11], v[7:8]
	v_add3_u32 v2, v4, v2, v3
	v_mul_u32_u24_e32 v3, 0x5a, v5
	v_sub_u32_e32 v28, v0, v3
	s_and_saveexec_b64 s[4:5], vcc
	s_xor_b64 s[4:5], exec, s[4:5]
; %bb.10:
	v_add_u32_e32 v32, 0x5a, v28
	v_add_u32_e32 v43, 0xb4, v28
	;; [unrolled: 1-line block ×9, first 2 shown]
; %bb.11:
	s_or_saveexec_b64 s[4:5], s[4:5]
	v_lshlrev_b64 v[30:31], 3, v[1:2]
	s_xor_b64 exec, exec, s[4:5]
	s_cbranch_execz .LBB0_13
; %bb.12:
	v_mov_b32_e32 v29, 0
	v_mov_b32_e32 v0, s3
	v_add_co_u32_e32 v2, vcc, s2, v30
	v_addc_co_u32_e32 v3, vcc, v0, v31, vcc
	v_lshlrev_b64 v[0:1], 3, v[28:29]
	s_movk_i32 s6, 0x1000
	v_add_co_u32_e32 v0, vcc, v2, v0
	v_addc_co_u32_e32 v1, vcc, v3, v1, vcc
	v_add_co_u32_e32 v4, vcc, s6, v0
	v_addc_co_u32_e32 v5, vcc, 0, v1, vcc
	s_movk_i32 s6, 0x2000
	global_load_dwordx2 v[2:3], v[0:1], off offset:2160
	global_load_dwordx2 v[6:7], v[0:1], off offset:2880
	;; [unrolled: 1-line block ×9, first 2 shown]
	v_add_co_u32_e32 v4, vcc, s6, v0
	v_addc_co_u32_e32 v5, vcc, 0, v1, vcc
	s_movk_i32 s6, 0x3000
	v_add_co_u32_e32 v40, vcc, s6, v0
	global_load_dwordx2 v[22:23], v[4:5], off offset:448
	global_load_dwordx2 v[24:25], v[4:5], off offset:1168
	;; [unrolled: 1-line block ×4, first 2 shown]
	global_load_dwordx2 v[34:35], v[0:1], off
	global_load_dwordx2 v[36:37], v[0:1], off offset:1440
	global_load_dwordx2 v[38:39], v[0:1], off offset:720
	v_addc_co_u32_e32 v41, vcc, 0, v1, vcc
	global_load_dwordx2 v[42:43], v[4:5], off offset:3328
	global_load_dwordx2 v[44:45], v[4:5], off offset:4048
	;; [unrolled: 1-line block ×4, first 2 shown]
	s_movk_i32 s6, 0x4000
	global_load_dwordx2 v[4:5], v[40:41], off offset:2112
	global_load_dwordx2 v[50:51], v[40:41], off offset:2832
	v_add_co_u32_e32 v52, vcc, s6, v0
	v_addc_co_u32_e32 v53, vcc, 0, v1, vcc
	global_load_dwordx2 v[54:55], v[40:41], off offset:3552
	global_load_dwordx2 v[56:57], v[52:53], off offset:176
	;; [unrolled: 1-line block ×4, first 2 shown]
	v_add_co_u32_e32 v0, vcc, 0x5000, v0
	global_load_dwordx2 v[62:63], v[52:53], off offset:2336
	global_load_dwordx2 v[64:65], v[52:53], off offset:3056
	v_addc_co_u32_e32 v1, vcc, 0, v1, vcc
	global_load_dwordx2 v[66:67], v[52:53], off offset:3776
	global_load_dwordx2 v[68:69], v[0:1], off offset:400
	v_lshl_add_u32 v0, v28, 3, 0
	v_add_u32_e32 v1, 0x400, v0
	v_add_u32_e32 v29, 0x800, v0
	v_add_u32_e32 v40, 0x1000, v0
	v_add_u32_e32 v41, 0x1400, v0
	v_add_u32_e32 v52, 0x1800, v0
	v_add_u32_e32 v53, 0x2000, v0
	v_add_u32_e32 v70, 0x2400, v0
	v_add_u32_e32 v71, 0x2800, v0
	v_add_u32_e32 v72, 0x3000, v0
	s_waitcnt vmcnt(15)
	ds_write2_b64 v1, v[36:37], v[2:3] offset0:52 offset1:142
	ds_write2_b64 v29, v[6:7], v[8:9] offset0:104 offset1:194
	s_waitcnt vmcnt(14)
	ds_write2_b64 v0, v[34:35], v[38:39] offset1:90
	ds_write2_b64 v40, v[10:11], v[12:13] offset0:28 offset1:118
	ds_write2_b64 v41, v[14:15], v[16:17] offset0:80 offset1:170
	;; [unrolled: 1-line block ×5, first 2 shown]
	s_waitcnt vmcnt(12)
	ds_write2_b64 v71, v[42:43], v[44:45] offset0:160 offset1:250
	s_waitcnt vmcnt(10)
	ds_write2_b64 v72, v[46:47], v[48:49] offset0:84 offset1:174
	v_add_u32_e32 v1, 0x3800, v0
	s_waitcnt vmcnt(8)
	ds_write2_b64 v1, v[4:5], v[50:51] offset0:8 offset1:98
	v_add_u32_e32 v1, 0x3c00, v0
	v_add_u32_e32 v32, 0x5a, v28
	s_waitcnt vmcnt(6)
	ds_write2_b64 v1, v[54:55], v[56:57] offset0:60 offset1:150
	v_add_u32_e32 v1, 0x4000, v0
	v_add_u32_e32 v43, 0xb4, v28
	;; [unrolled: 1-line block ×5, first 2 shown]
	s_waitcnt vmcnt(4)
	ds_write2_b64 v1, v[58:59], v[60:61] offset0:112 offset1:202
	v_add_u32_e32 v41, 0x21c, v28
	v_add_u32_e32 v36, 0x276, v28
	;; [unrolled: 1-line block ×6, first 2 shown]
	s_waitcnt vmcnt(2)
	ds_write2_b64 v1, v[62:63], v[64:65] offset0:36 offset1:126
	s_waitcnt vmcnt(0)
	ds_write2_b64 v0, v[66:67], v[68:69] offset0:88 offset1:178
.LBB0_13:
	s_or_b64 exec, exec, s[4:5]
	v_lshlrev_b32_e32 v29, 3, v28
	v_add_u32_e32 v84, 0, v29
	v_add_u32_e32 v76, 0x1800, v84
	s_waitcnt lgkmcnt(0)
	s_barrier
	ds_read2_b64 v[16:19], v84 offset1:90
	ds_read2_b64 v[44:47], v76 offset0:132 offset1:222
	v_add_u32_e32 v93, 0x3800, v84
	ds_read2_b64 v[48:51], v93 offset0:8 offset1:98
	v_add_u32_e32 v0, 0x400, v84
	v_add_u32_e32 v94, 0x2000, v84
	s_waitcnt lgkmcnt(1)
	v_add_f32_e32 v40, v16, v44
	ds_read2_b64 v[12:15], v0 offset0:52 offset1:142
	s_waitcnt lgkmcnt(1)
	v_add_f32_e32 v79, v40, v48
	v_add_f32_e32 v40, v44, v48
	v_fma_f32 v16, -0.5, v40, v16
	v_sub_f32_e32 v40, v45, v49
	v_mov_b32_e32 v81, v16
	v_fmac_f32_e32 v81, 0xbf5db3d7, v40
	v_fmac_f32_e32 v16, 0x3f5db3d7, v40
	v_add_f32_e32 v40, v17, v45
	v_add_f32_e32 v80, v40, v49
	;; [unrolled: 1-line block ×3, first 2 shown]
	v_fma_f32 v17, -0.5, v40, v17
	v_sub_f32_e32 v40, v44, v48
	v_mov_b32_e32 v82, v17
	v_fmac_f32_e32 v82, 0x3f5db3d7, v40
	v_fmac_f32_e32 v17, 0xbf5db3d7, v40
	v_add_f32_e32 v40, v18, v46
	v_add_f32_e32 v44, v40, v50
	;; [unrolled: 1-line block ×3, first 2 shown]
	v_fma_f32 v18, -0.5, v40, v18
	ds_read2_b64 v[52:55], v94 offset0:56 offset1:146
	v_add_u32_e32 v95, 0x3c00, v84
	v_sub_f32_e32 v40, v47, v51
	v_mov_b32_e32 v48, v18
	ds_read2_b64 v[56:59], v95 offset0:60 offset1:150
	v_fmac_f32_e32 v48, 0xbf5db3d7, v40
	v_fmac_f32_e32 v18, 0x3f5db3d7, v40
	v_add_f32_e32 v40, v19, v47
	v_add_f32_e32 v45, v40, v51
	v_add_f32_e32 v40, v47, v51
	v_fmac_f32_e32 v19, -0.5, v40
	v_sub_f32_e32 v40, v46, v50
	v_mov_b32_e32 v49, v19
	v_fmac_f32_e32 v49, 0x3f5db3d7, v40
	v_fmac_f32_e32 v19, 0xbf5db3d7, v40
	s_waitcnt lgkmcnt(1)
	v_add_f32_e32 v40, v12, v52
	s_waitcnt lgkmcnt(0)
	v_add_f32_e32 v46, v40, v56
	v_add_f32_e32 v40, v52, v56
	v_fma_f32 v12, -0.5, v40, v12
	v_sub_f32_e32 v40, v53, v57
	v_mov_b32_e32 v50, v12
	v_fmac_f32_e32 v50, 0xbf5db3d7, v40
	v_fmac_f32_e32 v12, 0x3f5db3d7, v40
	v_add_f32_e32 v40, v13, v53
	v_add_f32_e32 v47, v40, v57
	v_add_f32_e32 v40, v53, v57
	v_fma_f32 v13, -0.5, v40, v13
	v_sub_f32_e32 v40, v52, v56
	v_mov_b32_e32 v51, v13
	v_fmac_f32_e32 v51, 0x3f5db3d7, v40
	v_fmac_f32_e32 v13, 0xbf5db3d7, v40
	v_add_f32_e32 v40, v14, v54
	v_add_f32_e32 v52, v40, v58
	v_add_f32_e32 v40, v54, v58
	v_add_u32_e32 v77, 0x800, v84
	v_add_u32_e32 v96, 0x2400, v84
	v_fma_f32 v14, -0.5, v40, v14
	ds_read2_b64 v[8:11], v77 offset0:104 offset1:194
	ds_read2_b64 v[60:63], v96 offset0:108 offset1:198
	v_add_u32_e32 v97, 0x4000, v84
	v_sub_f32_e32 v40, v55, v59
	v_mov_b32_e32 v56, v14
	ds_read2_b64 v[64:67], v97 offset0:112 offset1:202
	v_fmac_f32_e32 v56, 0xbf5db3d7, v40
	v_fmac_f32_e32 v14, 0x3f5db3d7, v40
	v_add_f32_e32 v40, v15, v55
	v_add_f32_e32 v53, v40, v59
	v_add_f32_e32 v40, v55, v59
	v_fmac_f32_e32 v15, -0.5, v40
	v_sub_f32_e32 v40, v54, v58
	v_mov_b32_e32 v57, v15
	v_fmac_f32_e32 v57, 0x3f5db3d7, v40
	v_fmac_f32_e32 v15, 0xbf5db3d7, v40
	s_waitcnt lgkmcnt(1)
	v_add_f32_e32 v40, v8, v60
	s_waitcnt lgkmcnt(0)
	v_add_f32_e32 v54, v40, v64
	v_add_f32_e32 v40, v60, v64
	v_fma_f32 v8, -0.5, v40, v8
	v_sub_f32_e32 v40, v61, v65
	v_mov_b32_e32 v58, v8
	v_fmac_f32_e32 v58, 0xbf5db3d7, v40
	v_fmac_f32_e32 v8, 0x3f5db3d7, v40
	v_add_f32_e32 v40, v9, v61
	v_add_f32_e32 v55, v40, v65
	v_add_f32_e32 v40, v61, v65
	v_fma_f32 v9, -0.5, v40, v9
	v_sub_f32_e32 v40, v60, v64
	v_mov_b32_e32 v59, v9
	v_fmac_f32_e32 v59, 0x3f5db3d7, v40
	v_fmac_f32_e32 v9, 0xbf5db3d7, v40
	v_add_f32_e32 v40, v10, v62
	v_add_f32_e32 v60, v40, v66
	v_add_f32_e32 v40, v62, v66
	v_add_u32_e32 v78, 0x1000, v84
	v_add_u32_e32 v98, 0x2800, v84
	v_fma_f32 v10, -0.5, v40, v10
	ds_read2_b64 v[4:7], v78 offset0:28 offset1:118
	ds_read2_b64 v[68:71], v98 offset0:160 offset1:250
	v_add_u32_e32 v99, 0x4800, v84
	v_sub_f32_e32 v40, v63, v67
	v_mov_b32_e32 v64, v10
	ds_read2_b64 v[72:75], v99 offset0:36 offset1:126
	v_fmac_f32_e32 v64, 0xbf5db3d7, v40
	v_fmac_f32_e32 v10, 0x3f5db3d7, v40
	v_add_f32_e32 v40, v11, v63
	v_add_f32_e32 v61, v40, v67
	v_add_f32_e32 v40, v63, v67
	v_fmac_f32_e32 v11, -0.5, v40
	v_sub_f32_e32 v40, v62, v66
	v_mov_b32_e32 v65, v11
	v_fmac_f32_e32 v65, 0x3f5db3d7, v40
	v_fmac_f32_e32 v11, 0xbf5db3d7, v40
	s_waitcnt lgkmcnt(1)
	v_add_f32_e32 v40, v4, v68
	s_waitcnt lgkmcnt(0)
	v_add_f32_e32 v62, v40, v72
	v_add_f32_e32 v40, v68, v72
	v_fma_f32 v4, -0.5, v40, v4
	v_sub_f32_e32 v40, v69, v73
	v_mov_b32_e32 v66, v4
	v_fmac_f32_e32 v66, 0xbf5db3d7, v40
	v_fmac_f32_e32 v4, 0x3f5db3d7, v40
	v_add_f32_e32 v40, v5, v69
	v_add_f32_e32 v63, v40, v73
	v_add_f32_e32 v40, v69, v73
	v_fma_f32 v5, -0.5, v40, v5
	v_sub_f32_e32 v40, v68, v72
	v_mov_b32_e32 v67, v5
	v_fmac_f32_e32 v67, 0x3f5db3d7, v40
	v_fmac_f32_e32 v5, 0xbf5db3d7, v40
	v_add_f32_e32 v40, v6, v70
	v_add_f32_e32 v68, v40, v74
	v_add_f32_e32 v40, v70, v74
	v_add_u32_e32 v0, 0x1400, v84
	v_add_u32_e32 v38, 0x3000, v84
	v_fma_f32 v6, -0.5, v40, v6
	ds_read2_b64 v[0:3], v0 offset0:80 offset1:170
	ds_read2_b64 v[20:23], v38 offset0:84 offset1:174
	v_add_u32_e32 v33, 0x4c00, v84
	v_sub_f32_e32 v40, v71, v75
	v_mov_b32_e32 v72, v6
	ds_read2_b64 v[24:27], v33 offset0:88 offset1:178
	v_fmac_f32_e32 v72, 0xbf5db3d7, v40
	v_fmac_f32_e32 v6, 0x3f5db3d7, v40
	v_add_f32_e32 v40, v7, v71
	v_add_f32_e32 v69, v40, v75
	v_add_f32_e32 v40, v71, v75
	v_fmac_f32_e32 v7, -0.5, v40
	v_sub_f32_e32 v40, v70, v74
	v_mov_b32_e32 v73, v7
	v_fmac_f32_e32 v73, 0x3f5db3d7, v40
	v_fmac_f32_e32 v7, 0xbf5db3d7, v40
	s_waitcnt lgkmcnt(1)
	v_add_f32_e32 v40, v0, v20
	s_waitcnt lgkmcnt(0)
	v_add_f32_e32 v70, v40, v24
	v_add_f32_e32 v40, v20, v24
	v_fma_f32 v0, -0.5, v40, v0
	v_sub_f32_e32 v40, v21, v25
	v_mov_b32_e32 v74, v0
	v_fmac_f32_e32 v74, 0xbf5db3d7, v40
	v_fmac_f32_e32 v0, 0x3f5db3d7, v40
	v_add_f32_e32 v40, v1, v21
	v_add_f32_e32 v21, v21, v25
	v_fma_f32 v1, -0.5, v21, v1
	v_sub_f32_e32 v20, v20, v24
	v_mov_b32_e32 v75, v1
	v_add_f32_e32 v21, v22, v26
	v_fmac_f32_e32 v75, 0x3f5db3d7, v20
	v_fmac_f32_e32 v1, 0xbf5db3d7, v20
	v_add_f32_e32 v20, v2, v22
	v_fma_f32 v2, -0.5, v21, v2
	v_sub_f32_e32 v21, v23, v27
	v_mov_b32_e32 v24, v2
	v_fmac_f32_e32 v24, 0xbf5db3d7, v21
	v_fmac_f32_e32 v2, 0x3f5db3d7, v21
	v_add_f32_e32 v21, v3, v23
	v_add_f32_e32 v23, v23, v27
	v_fmac_f32_e32 v3, -0.5, v23
	v_add_f32_e32 v71, v40, v25
	v_sub_f32_e32 v22, v22, v26
	v_mov_b32_e32 v25, v3
	v_fmac_f32_e32 v25, 0x3f5db3d7, v22
	v_fmac_f32_e32 v3, 0xbf5db3d7, v22
	v_mad_u32_u24 v22, v28, 24, 0
	s_barrier
	ds_write2_b64 v22, v[79:80], v[81:82] offset1:1
	ds_write_b64 v22, v[16:17] offset:16
	v_mad_i32_i24 v16, v32, 24, 0
	ds_write2_b64 v16, v[44:45], v[48:49] offset1:1
	ds_write_b64 v16, v[18:19] offset:16
	v_mad_i32_i24 v16, v43, 24, 0
	;; [unrolled: 3-line block ×5, first 2 shown]
	v_mad_i32_i24 v86, v41, 24, 0
	ds_write2_b64 v8, v[60:61], v[64:65] offset1:1
	ds_write_b64 v8, v[10:11] offset:16
	ds_write2_b64 v86, v[62:63], v[66:67] offset1:1
	ds_write_b64 v86, v[4:5] offset:16
	v_mad_i32_i24 v4, v36, 24, 0
	ds_write2_b64 v4, v[68:69], v[72:73] offset1:1
	ds_write_b64 v4, v[6:7] offset:16
	v_mad_i32_i24 v4, v35, 24, 0
	s_movk_i32 s4, 0xab
	ds_write2_b64 v4, v[70:71], v[74:75] offset1:1
	ds_write_b64 v4, v[0:1] offset:16
	v_mul_lo_u16_sdwa v0, v28, s4 dst_sel:DWORD dst_unused:UNUSED_PAD src0_sel:BYTE_0 src1_sel:DWORD
	v_lshrrev_b16_e32 v79, 9, v0
	v_mul_lo_u16_e32 v0, 3, v79
	v_mul_lo_u16_sdwa v1, v32, s4 dst_sel:DWORD dst_unused:UNUSED_PAD src0_sel:BYTE_0 src1_sel:DWORD
	v_sub_u16_e32 v101, v28, v0
	v_mov_b32_e32 v80, 9
	v_lshrrev_b16_e32 v83, 9, v1
	v_mul_u32_u24_sdwa v0, v101, v80 dst_sel:DWORD dst_unused:UNUSED_PAD src0_sel:BYTE_0 src1_sel:DWORD
	v_mul_lo_u16_e32 v1, 3, v83
	v_add_f32_e32 v20, v20, v26
	v_add_f32_e32 v21, v21, v27
	v_mad_i32_i24 v85, v34, 24, 0
	v_lshlrev_b32_e32 v0, 3, v0
	v_sub_u16_e32 v100, v32, v1
	ds_write2_b64 v85, v[20:21], v[24:25] offset1:1
	ds_write_b64 v85, v[2:3] offset:16
	s_waitcnt lgkmcnt(0)
	s_barrier
	global_load_dwordx4 v[6:9], v0, s[8:9]
	v_mul_u32_u24_sdwa v1, v100, v80 dst_sel:DWORD dst_unused:UNUSED_PAD src0_sel:BYTE_0 src1_sel:DWORD
	v_lshlrev_b32_e32 v48, 3, v1
	global_load_dwordx4 v[16:19], v48, s[8:9]
	s_mov_b32 s4, 0xaaab
	v_mul_u32_u24_sdwa v1, v43, s4 dst_sel:DWORD dst_unused:UNUSED_PAD src0_sel:WORD_0 src1_sel:DWORD
	v_lshrrev_b32_e32 v81, 17, v1
	v_mul_lo_u16_e32 v1, 3, v81
	v_sub_u16_e32 v82, v43, v1
	v_mul_u32_u24_e32 v1, 9, v82
	v_lshlrev_b32_e32 v122, 3, v1
	global_load_dwordx4 v[20:23], v122, s[8:9]
	global_load_dwordx4 v[24:27], v0, s[8:9] offset:16
	global_load_dwordx4 v[50:53], v48, s[8:9] offset:16
	;; [unrolled: 1-line block ×5, first 2 shown]
	global_load_dwordx2 v[74:75], v0, s[8:9] offset:64
	global_load_dwordx4 v[66:69], v48, s[8:9] offset:32
	v_lshlrev_b32_e32 v90, 4, v41
	v_sub_u32_e32 v92, v86, v90
	v_lshlrev_b32_e32 v40, 4, v34
	v_sub_u32_e32 v91, v85, v40
	ds_read_b64 v[10:11], v92
	ds_read_b64 v[106:107], v91
	ds_read2_b64 v[44:47], v77 offset0:104 offset1:194
	global_load_dwordx4 v[70:73], v122, s[8:9] offset:48
	global_load_dwordx4 v[108:111], v122, s[8:9] offset:32
	v_lshl_add_u32 v89, v32, 3, 0
	v_lshl_add_u32 v87, v42, 3, 0
	ds_read_b64 v[4:5], v84
	ds_read_b64 v[12:13], v87
	ds_read2_b64 v[102:105], v78 offset0:118 offset1:208
	v_lshl_add_u32 v88, v43, 3, 0
	ds_read_b64 v[2:3], v89
	ds_read_b64 v[0:1], v88
	global_load_dwordx4 v[112:115], v48, s[8:9] offset:48
	global_load_dwordx2 v[120:121], v48, s[8:9] offset:64
	ds_read2_b64 v[116:119], v94 offset0:56 offset1:146
	s_movk_i32 s4, 0x89
	s_mov_b32 s5, 0x8889
	s_add_u32 s6, s8, 0x5448
	s_addc_u32 s7, s9, 0
	s_waitcnt vmcnt(13) lgkmcnt(4)
	v_mul_f32_e32 v14, v7, v13
	v_mul_f32_e32 v7, v7, v12
	v_fmac_f32_e32 v14, v6, v12
	v_fma_f32 v15, v6, v13, -v7
	v_mul_f32_e32 v123, v11, v9
	v_mul_f32_e32 v6, v10, v9
	v_fmac_f32_e32 v123, v10, v8
	v_fma_f32 v124, v11, v8, -v6
	s_waitcnt vmcnt(12)
	v_mul_f32_e32 v10, v45, v17
	v_mul_f32_e32 v6, v44, v17
	s_waitcnt vmcnt(10) lgkmcnt(0)
	v_mul_f32_e32 v125, v117, v27
	v_mul_f32_e32 v17, v116, v27
	v_fmac_f32_e32 v125, v116, v26
	v_fma_f32 v126, v117, v26, -v17
	global_load_dwordx2 v[116:117], v122, s[8:9] offset:64
	v_fma_f32 v11, v45, v16, -v6
	v_mul_f32_e32 v6, v102, v19
	v_fma_f32 v12, v103, v18, -v6
	v_mul_f32_e32 v6, v47, v21
	v_mul_f32_e32 v7, v46, v21
	;; [unrolled: 1-line block ×4, first 2 shown]
	v_fmac_f32_e32 v6, v46, v20
	v_fma_f32 v7, v47, v20, -v7
	v_fmac_f32_e32 v9, v104, v22
	v_fma_f32 v8, v105, v22, -v8
	ds_read2_b64 v[20:23], v76 offset0:132 offset1:222
	v_mul_f32_e32 v13, v103, v19
	v_fmac_f32_e32 v13, v102, v18
	ds_read2_b64 v[102:105], v96 offset0:108 offset1:198
	s_waitcnt vmcnt(10)
	v_mul_f32_e32 v17, v118, v53
	v_mul_f32_e32 v45, v119, v53
	v_fma_f32 v26, v119, v52, -v17
	s_waitcnt lgkmcnt(1)
	v_mul_f32_e32 v18, v21, v51
	v_mul_f32_e32 v17, v20, v51
	v_fmac_f32_e32 v45, v118, v52
	v_fmac_f32_e32 v18, v20, v50
	v_fma_f32 v17, v21, v50, -v17
	ds_read2_b64 v[50:53], v38 offset0:84 offset1:174
	s_waitcnt vmcnt(9)
	v_mul_f32_e32 v19, v22, v55
	v_mul_f32_e32 v49, v107, v25
	v_fma_f32 v20, v23, v54, -v19
	s_waitcnt lgkmcnt(1)
	v_mul_f32_e32 v19, v102, v57
	v_fmac_f32_e32 v10, v44, v16
	v_fmac_f32_e32 v49, v106, v24
	v_mul_f32_e32 v16, v106, v25
	v_mul_f32_e32 v106, v103, v57
	v_fma_f32 v103, v103, v56, -v19
	s_waitcnt vmcnt(8)
	v_mul_f32_e32 v19, v104, v59
	v_mul_f32_e32 v21, v23, v55
	;; [unrolled: 1-line block ×3, first 2 shown]
	v_fma_f32 v119, v105, v58, -v19
	s_waitcnt lgkmcnt(0)
	v_mul_f32_e32 v122, v51, v61
	v_mul_f32_e32 v19, v50, v61
	v_fmac_f32_e32 v21, v22, v54
	v_fmac_f32_e32 v106, v102, v56
	ds_read2_b64 v[54:57], v93 offset0:8 offset1:98
	v_fmac_f32_e32 v118, v104, v58
	v_fmac_f32_e32 v122, v50, v60
	v_fma_f32 v127, v51, v60, -v19
	ds_read2_b64 v[58:61], v98 offset0:160 offset1:250
	s_waitcnt vmcnt(5)
	v_mul_f32_e32 v48, v53, v69
	v_mul_f32_e32 v19, v52, v69
	v_fma_f32 v16, v107, v24, -v16
	v_fmac_f32_e32 v48, v52, v68
	v_fma_f32 v47, v53, v68, -v19
	s_waitcnt lgkmcnt(0)
	v_mul_f32_e32 v24, v59, v67
	v_mul_f32_e32 v19, v58, v67
	ds_read2_b64 v[50:53], v97 offset0:112 offset1:202
	s_waitcnt vmcnt(3)
	v_mul_f32_e32 v23, v61, v109
	v_mul_f32_e32 v22, v60, v109
	;; [unrolled: 1-line block ×3, first 2 shown]
	v_fmac_f32_e32 v24, v58, v66
	v_fma_f32 v19, v59, v66, -v19
	v_fmac_f32_e32 v23, v60, v108
	v_fma_f32 v22, v61, v108, -v22
	v_mul_f32_e32 v109, v55, v111
	v_fma_f32 v108, v55, v110, -v25
	v_mul_f32_e32 v66, v57, v63
	v_mul_f32_e32 v25, v56, v63
	v_fmac_f32_e32 v109, v54, v110
	v_fmac_f32_e32 v66, v56, v62
	v_fma_f32 v62, v57, v62, -v25
	ds_read2_b64 v[54:57], v95 offset0:60 offset1:150
	s_waitcnt lgkmcnt(1)
	v_mul_f32_e32 v63, v51, v65
	v_mul_f32_e32 v25, v50, v65
	v_fmac_f32_e32 v63, v50, v64
	v_fma_f32 v64, v51, v64, -v25
	s_waitcnt vmcnt(2)
	v_mul_f32_e32 v25, v52, v115
	v_mul_f32_e32 v51, v53, v115
	v_fma_f32 v50, v53, v114, -v25
	s_waitcnt lgkmcnt(0)
	v_mul_f32_e32 v44, v55, v113
	v_mul_f32_e32 v25, v54, v113
	ds_read2_b64 v[58:61], v99 offset0:36 offset1:126
	v_fmac_f32_e32 v51, v52, v114
	v_fmac_f32_e32 v44, v54, v112
	v_fma_f32 v25, v55, v112, -v25
	ds_read2_b64 v[52:55], v33 offset0:88 offset1:178
	s_waitcnt lgkmcnt(1)
	v_mul_f32_e32 v65, v61, v75
	v_mul_f32_e32 v27, v60, v75
	v_fmac_f32_e32 v65, v60, v74
	v_fma_f32 v60, v61, v74, -v27
	s_waitcnt vmcnt(1) lgkmcnt(0)
	v_mul_f32_e32 v46, v53, v121
	v_fmac_f32_e32 v46, v52, v120
	v_mul_f32_e32 v27, v52, v121
	v_mul_f32_e32 v52, v56, v71
	v_fma_f32 v27, v53, v120, -v27
	v_fma_f32 v102, v57, v70, -v52
	v_mul_f32_e32 v52, v58, v73
	v_add_f32_e32 v53, v125, v122
	v_fma_f32 v110, v59, v72, -v52
	s_waitcnt vmcnt(0)
	v_mul_f32_e32 v107, v55, v117
	v_mul_f32_e32 v52, v54, v117
	v_fma_f32 v53, -0.5, v53, v4
	v_mul_f32_e32 v105, v57, v71
	v_mul_f32_e32 v111, v59, v73
	v_fmac_f32_e32 v107, v54, v116
	v_fma_f32 v104, v55, v116, -v52
	v_sub_f32_e32 v54, v124, v64
	v_mov_b32_e32 v55, v53
	v_fmac_f32_e32 v105, v56, v70
	v_fmac_f32_e32 v111, v58, v72
	;; [unrolled: 1-line block ×3, first 2 shown]
	v_sub_f32_e32 v56, v126, v127
	v_sub_f32_e32 v57, v123, v125
	;; [unrolled: 1-line block ×3, first 2 shown]
	v_fmac_f32_e32 v53, 0x3f737871, v54
	v_fmac_f32_e32 v55, 0xbf167918, v56
	v_add_f32_e32 v57, v57, v58
	v_fmac_f32_e32 v53, 0x3f167918, v56
	v_fmac_f32_e32 v55, 0x3e9e377a, v57
	;; [unrolled: 1-line block ×3, first 2 shown]
	v_add_f32_e32 v57, v123, v63
	v_add_f32_e32 v52, v4, v123
	v_fma_f32 v4, -0.5, v57, v4
	v_mov_b32_e32 v57, v4
	v_fmac_f32_e32 v57, 0x3f737871, v56
	v_sub_f32_e32 v58, v125, v123
	v_sub_f32_e32 v59, v122, v63
	v_fmac_f32_e32 v4, 0xbf737871, v56
	v_add_f32_e32 v56, v126, v127
	v_add_f32_e32 v52, v52, v125
	;; [unrolled: 1-line block ×3, first 2 shown]
	v_fma_f32 v59, -0.5, v56, v5
	v_add_f32_e32 v52, v52, v122
	v_fmac_f32_e32 v57, 0xbf167918, v54
	v_fmac_f32_e32 v4, 0x3f167918, v54
	v_sub_f32_e32 v56, v123, v63
	v_mov_b32_e32 v61, v59
	v_add_f32_e32 v52, v52, v63
	v_fmac_f32_e32 v57, 0x3e9e377a, v58
	v_fmac_f32_e32 v4, 0x3e9e377a, v58
	;; [unrolled: 1-line block ×3, first 2 shown]
	v_sub_f32_e32 v58, v125, v122
	v_sub_f32_e32 v63, v124, v126
	;; [unrolled: 1-line block ×3, first 2 shown]
	v_fmac_f32_e32 v59, 0xbf737871, v56
	v_fmac_f32_e32 v61, 0x3f167918, v58
	v_add_f32_e32 v63, v63, v67
	v_fmac_f32_e32 v59, 0xbf167918, v58
	v_add_f32_e32 v54, v5, v124
	v_fmac_f32_e32 v61, 0x3e9e377a, v63
	v_fmac_f32_e32 v59, 0x3e9e377a, v63
	v_add_f32_e32 v63, v124, v64
	v_add_f32_e32 v54, v54, v126
	v_fmac_f32_e32 v5, -0.5, v63
	v_add_f32_e32 v54, v54, v127
	v_mov_b32_e32 v112, v5
	v_add_f32_e32 v54, v54, v64
	v_fmac_f32_e32 v112, 0xbf737871, v58
	v_sub_f32_e32 v63, v126, v124
	v_sub_f32_e32 v64, v127, v64
	v_fmac_f32_e32 v5, 0x3f737871, v58
	v_add_f32_e32 v58, v118, v66
	v_fmac_f32_e32 v112, 0x3f167918, v56
	v_add_f32_e32 v63, v63, v64
	v_fmac_f32_e32 v5, 0xbf167918, v56
	v_fma_f32 v58, -0.5, v58, v14
	v_fmac_f32_e32 v112, 0x3e9e377a, v63
	v_fmac_f32_e32 v5, 0x3e9e377a, v63
	v_sub_f32_e32 v63, v16, v60
	v_mov_b32_e32 v64, v58
	v_fmac_f32_e32 v64, 0xbf737871, v63
	v_sub_f32_e32 v67, v119, v62
	v_sub_f32_e32 v68, v49, v118
	;; [unrolled: 1-line block ×3, first 2 shown]
	v_fmac_f32_e32 v58, 0x3f737871, v63
	v_fmac_f32_e32 v64, 0xbf167918, v67
	v_add_f32_e32 v68, v68, v69
	v_fmac_f32_e32 v58, 0x3f167918, v67
	v_fmac_f32_e32 v64, 0x3e9e377a, v68
	v_fmac_f32_e32 v58, 0x3e9e377a, v68
	v_add_f32_e32 v68, v49, v65
	v_add_f32_e32 v56, v14, v49
	v_fmac_f32_e32 v14, -0.5, v68
	v_mov_b32_e32 v68, v14
	v_fmac_f32_e32 v68, 0x3f737871, v67
	v_fmac_f32_e32 v14, 0xbf737871, v67
	;; [unrolled: 1-line block ×4, first 2 shown]
	v_add_f32_e32 v63, v15, v16
	v_sub_f32_e32 v69, v118, v49
	v_sub_f32_e32 v70, v66, v65
	v_add_f32_e32 v63, v63, v119
	v_add_f32_e32 v69, v69, v70
	;; [unrolled: 1-line block ×4, first 2 shown]
	v_fmac_f32_e32 v68, 0x3e9e377a, v69
	v_fmac_f32_e32 v14, 0x3e9e377a, v69
	v_add_f32_e32 v69, v63, v60
	v_add_f32_e32 v63, v119, v62
	;; [unrolled: 1-line block ×3, first 2 shown]
	v_fma_f32 v63, -0.5, v63, v15
	v_add_f32_e32 v56, v56, v65
	v_sub_f32_e32 v49, v49, v65
	v_mov_b32_e32 v65, v63
	v_fmac_f32_e32 v65, 0x3f737871, v49
	v_sub_f32_e32 v66, v118, v66
	v_sub_f32_e32 v67, v16, v119
	;; [unrolled: 1-line block ×3, first 2 shown]
	v_fmac_f32_e32 v63, 0xbf737871, v49
	v_fmac_f32_e32 v65, 0x3f167918, v66
	v_add_f32_e32 v67, v67, v70
	v_fmac_f32_e32 v63, 0xbf167918, v66
	v_fmac_f32_e32 v65, 0x3e9e377a, v67
	;; [unrolled: 1-line block ×3, first 2 shown]
	v_add_f32_e32 v67, v16, v60
	v_fmac_f32_e32 v15, -0.5, v67
	v_mov_b32_e32 v67, v15
	v_fmac_f32_e32 v67, 0xbf737871, v66
	v_sub_f32_e32 v16, v119, v16
	v_sub_f32_e32 v60, v62, v60
	v_fmac_f32_e32 v15, 0x3f737871, v66
	v_fmac_f32_e32 v67, 0x3f167918, v49
	v_add_f32_e32 v16, v16, v60
	v_fmac_f32_e32 v15, 0xbf167918, v49
	v_fmac_f32_e32 v67, 0x3e9e377a, v16
	;; [unrolled: 1-line block ×3, first 2 shown]
	v_mul_f32_e32 v49, 0xbf737871, v67
	v_mul_f32_e32 v113, 0xbf737871, v15
	;; [unrolled: 1-line block ×4, first 2 shown]
	v_fmac_f32_e32 v49, 0x3e9e377a, v68
	v_mul_f32_e32 v65, 0x3f4f1bbd, v65
	v_fmac_f32_e32 v15, 0x3f737871, v14
	v_fmac_f32_e32 v16, 0x3f4f1bbd, v64
	v_add_f32_e32 v66, v57, v49
	v_fmac_f32_e32 v113, 0xbe9e377a, v14
	v_fmac_f32_e32 v65, 0x3f167918, v64
	v_add_f32_e32 v71, v5, v15
	v_mul_f32_e32 v14, 0xbf4f1bbd, v63
	v_sub_f32_e32 v64, v57, v49
	v_sub_f32_e32 v57, v5, v15
	v_add_f32_e32 v5, v45, v48
	v_fmac_f32_e32 v14, 0x3f167918, v58
	v_fma_f32 v5, -0.5, v5, v2
	v_mul_f32_e32 v114, 0xbf167918, v63
	v_mul_f32_e32 v115, 0x3e9e377a, v67
	v_add_f32_e32 v63, v59, v14
	v_sub_f32_e32 v59, v59, v14
	v_sub_f32_e32 v14, v12, v50
	v_mov_b32_e32 v15, v5
	v_add_f32_e32 v72, v52, v56
	v_add_f32_e32 v74, v55, v16
	v_fmac_f32_e32 v115, 0x3f737871, v68
	v_sub_f32_e32 v68, v52, v56
	v_sub_f32_e32 v60, v55, v16
	v_fmac_f32_e32 v15, 0xbf737871, v14
	v_sub_f32_e32 v16, v26, v47
	v_sub_f32_e32 v49, v13, v45
	;; [unrolled: 1-line block ×3, first 2 shown]
	v_fmac_f32_e32 v5, 0x3f737871, v14
	v_fmac_f32_e32 v15, 0xbf167918, v16
	v_add_f32_e32 v49, v49, v52
	v_fmac_f32_e32 v5, 0x3f167918, v16
	v_fmac_f32_e32 v15, 0x3e9e377a, v49
	;; [unrolled: 1-line block ×3, first 2 shown]
	v_add_f32_e32 v49, v13, v51
	v_add_f32_e32 v70, v4, v113
	v_sub_f32_e32 v56, v4, v113
	v_add_f32_e32 v4, v2, v13
	v_fma_f32 v2, -0.5, v49, v2
	v_add_f32_e32 v75, v61, v65
	v_add_f32_e32 v67, v112, v115
	v_sub_f32_e32 v61, v61, v65
	v_sub_f32_e32 v65, v112, v115
	v_mov_b32_e32 v112, v2
	v_fmac_f32_e32 v112, 0x3f737871, v16
	v_fmac_f32_e32 v2, 0xbf737871, v16
	v_add_f32_e32 v16, v26, v47
	v_fmac_f32_e32 v114, 0xbf4f1bbd, v58
	v_fma_f32 v113, -0.5, v16, v3
	v_add_f32_e32 v62, v53, v114
	v_sub_f32_e32 v58, v53, v114
	v_add_f32_e32 v4, v4, v45
	v_sub_f32_e32 v49, v45, v13
	v_sub_f32_e32 v13, v13, v51
	v_mov_b32_e32 v114, v113
	v_add_f32_e32 v4, v4, v48
	v_sub_f32_e32 v52, v48, v51
	v_fmac_f32_e32 v114, 0x3f737871, v13
	v_sub_f32_e32 v16, v45, v48
	v_sub_f32_e32 v45, v12, v26
	;; [unrolled: 1-line block ×3, first 2 shown]
	v_fmac_f32_e32 v113, 0xbf737871, v13
	v_fmac_f32_e32 v114, 0x3f167918, v16
	v_add_f32_e32 v45, v45, v48
	v_fmac_f32_e32 v113, 0xbf167918, v16
	v_fmac_f32_e32 v114, 0x3e9e377a, v45
	;; [unrolled: 1-line block ×3, first 2 shown]
	v_add_f32_e32 v45, v12, v50
	v_fmac_f32_e32 v112, 0xbf167918, v14
	v_fmac_f32_e32 v2, 0x3f167918, v14
	v_add_f32_e32 v14, v3, v12
	v_fmac_f32_e32 v3, -0.5, v45
	v_mov_b32_e32 v45, v3
	v_fmac_f32_e32 v45, 0xbf737871, v16
	v_fmac_f32_e32 v3, 0x3f737871, v16
	;; [unrolled: 1-line block ×4, first 2 shown]
	v_add_f32_e32 v13, v24, v44
	v_add_f32_e32 v14, v14, v26
	v_sub_f32_e32 v12, v26, v12
	v_sub_f32_e32 v26, v47, v50
	v_fma_f32 v13, -0.5, v13, v10
	v_add_f32_e32 v49, v49, v52
	v_add_f32_e32 v12, v12, v26
	v_sub_f32_e32 v16, v17, v27
	v_mov_b32_e32 v26, v13
	v_fmac_f32_e32 v112, 0x3e9e377a, v49
	v_fmac_f32_e32 v2, 0x3e9e377a, v49
	v_add_f32_e32 v14, v14, v47
	v_fmac_f32_e32 v26, 0xbf737871, v16
	v_sub_f32_e32 v47, v19, v25
	v_sub_f32_e32 v48, v18, v24
	;; [unrolled: 1-line block ×3, first 2 shown]
	v_fmac_f32_e32 v13, 0x3f737871, v16
	v_fmac_f32_e32 v26, 0xbf167918, v47
	v_add_f32_e32 v48, v48, v49
	v_fmac_f32_e32 v13, 0x3f167918, v47
	v_fmac_f32_e32 v26, 0x3e9e377a, v48
	;; [unrolled: 1-line block ×3, first 2 shown]
	v_add_f32_e32 v48, v18, v46
	v_fmac_f32_e32 v45, 0x3e9e377a, v12
	v_fmac_f32_e32 v3, 0x3e9e377a, v12
	v_add_f32_e32 v12, v10, v18
	v_fmac_f32_e32 v10, -0.5, v48
	v_mov_b32_e32 v49, v10
	v_fmac_f32_e32 v49, 0x3f737871, v47
	v_fmac_f32_e32 v10, 0xbf737871, v47
	v_fmac_f32_e32 v49, 0xbf167918, v16
	v_fmac_f32_e32 v10, 0x3f167918, v16
	v_add_f32_e32 v16, v11, v17
	v_add_f32_e32 v16, v16, v19
	;; [unrolled: 1-line block ×8, first 2 shown]
	v_sub_f32_e32 v48, v24, v18
	v_sub_f32_e32 v50, v44, v46
	v_fma_f32 v16, -0.5, v16, v11
	v_add_f32_e32 v12, v12, v46
	v_add_f32_e32 v48, v48, v50
	v_sub_f32_e32 v18, v18, v46
	v_mov_b32_e32 v46, v16
	v_fmac_f32_e32 v49, 0x3e9e377a, v48
	v_fmac_f32_e32 v10, 0x3e9e377a, v48
	;; [unrolled: 1-line block ×3, first 2 shown]
	v_sub_f32_e32 v24, v24, v44
	v_sub_f32_e32 v44, v17, v19
	;; [unrolled: 1-line block ×3, first 2 shown]
	v_fmac_f32_e32 v16, 0xbf737871, v18
	v_fmac_f32_e32 v46, 0x3f167918, v24
	v_add_f32_e32 v44, v44, v48
	v_fmac_f32_e32 v16, 0xbf167918, v24
	v_fmac_f32_e32 v46, 0x3e9e377a, v44
	;; [unrolled: 1-line block ×3, first 2 shown]
	v_add_f32_e32 v44, v17, v27
	v_fmac_f32_e32 v11, -0.5, v44
	v_mov_b32_e32 v44, v11
	v_sub_f32_e32 v17, v19, v17
	v_sub_f32_e32 v19, v25, v27
	v_fmac_f32_e32 v11, 0x3f737871, v24
	v_fmac_f32_e32 v44, 0xbf737871, v24
	v_add_f32_e32 v17, v17, v19
	v_fmac_f32_e32 v11, 0xbf167918, v18
	v_fmac_f32_e32 v44, 0x3f167918, v18
	v_fmac_f32_e32 v11, 0x3e9e377a, v17
	v_fmac_f32_e32 v44, 0x3e9e377a, v17
	v_mul_f32_e32 v17, 0xbf167918, v46
	v_mul_f32_e32 v19, 0xbf737871, v11
	;; [unrolled: 1-line block ×3, first 2 shown]
	v_fmac_f32_e32 v17, 0x3f4f1bbd, v26
	v_fmac_f32_e32 v11, 0x3f737871, v10
	v_add_f32_e32 v73, v54, v69
	v_sub_f32_e32 v69, v54, v69
	v_add_f32_e32 v4, v4, v51
	v_add_f32_e32 v54, v15, v17
	v_add_f32_e32 v51, v3, v11
	v_sub_f32_e32 v24, v15, v17
	v_sub_f32_e32 v17, v3, v11
	v_add_f32_e32 v3, v106, v109
	v_mul_f32_e32 v18, 0xbf737871, v44
	v_fmac_f32_e32 v19, 0xbe9e377a, v10
	v_mul_f32_e32 v25, 0xbf167918, v16
	v_mul_f32_e32 v10, 0xbf4f1bbd, v16
	v_fma_f32 v3, -0.5, v3, v0
	v_add_f32_e32 v52, v4, v12
	v_fmac_f32_e32 v18, 0x3e9e377a, v49
	v_fmac_f32_e32 v25, 0xbf4f1bbd, v13
	v_mul_f32_e32 v115, 0x3f4f1bbd, v46
	v_fmac_f32_e32 v10, 0x3f167918, v13
	v_sub_f32_e32 v46, v4, v12
	v_sub_f32_e32 v4, v8, v110
	v_mov_b32_e32 v11, v3
	v_add_f32_e32 v48, v112, v18
	v_add_f32_e32 v50, v2, v19
	v_fmac_f32_e32 v115, 0x3f167918, v26
	v_add_f32_e32 v26, v5, v25
	v_mul_f32_e32 v116, 0x3e9e377a, v44
	v_add_f32_e32 v27, v113, v10
	v_sub_f32_e32 v44, v112, v18
	v_sub_f32_e32 v16, v2, v19
	;; [unrolled: 1-line block ×4, first 2 shown]
	v_fmac_f32_e32 v11, 0xbf737871, v4
	v_sub_f32_e32 v5, v103, v108
	v_sub_f32_e32 v10, v9, v106
	;; [unrolled: 1-line block ×3, first 2 shown]
	v_fmac_f32_e32 v3, 0x3f737871, v4
	v_fmac_f32_e32 v11, 0xbf167918, v5
	v_add_f32_e32 v10, v10, v12
	v_fmac_f32_e32 v3, 0x3f167918, v5
	v_fmac_f32_e32 v11, 0x3e9e377a, v10
	;; [unrolled: 1-line block ×3, first 2 shown]
	v_add_f32_e32 v10, v9, v111
	v_add_f32_e32 v2, v0, v9
	v_fma_f32 v0, -0.5, v10, v0
	v_mov_b32_e32 v112, v0
	v_fmac_f32_e32 v112, 0x3f737871, v5
	v_fmac_f32_e32 v0, 0xbf737871, v5
	;; [unrolled: 1-line block ×4, first 2 shown]
	v_add_f32_e32 v4, v1, v8
	v_add_f32_e32 v4, v4, v103
	;; [unrolled: 1-line block ×6, first 2 shown]
	v_sub_f32_e32 v25, v114, v115
	v_sub_f32_e32 v10, v106, v9
	;; [unrolled: 1-line block ×3, first 2 shown]
	v_fma_f32 v114, -0.5, v4, v1
	v_add_f32_e32 v10, v10, v12
	v_sub_f32_e32 v4, v9, v111
	v_mov_b32_e32 v9, v114
	v_fmac_f32_e32 v112, 0x3e9e377a, v10
	v_fmac_f32_e32 v0, 0x3e9e377a, v10
	v_fmac_f32_e32 v9, 0x3f737871, v4
	v_sub_f32_e32 v5, v106, v109
	v_sub_f32_e32 v10, v8, v103
	;; [unrolled: 1-line block ×3, first 2 shown]
	v_fmac_f32_e32 v114, 0xbf737871, v4
	v_fmac_f32_e32 v9, 0x3f167918, v5
	v_add_f32_e32 v10, v10, v12
	v_fmac_f32_e32 v114, 0xbf167918, v5
	v_fmac_f32_e32 v9, 0x3e9e377a, v10
	;; [unrolled: 1-line block ×3, first 2 shown]
	v_add_f32_e32 v10, v8, v110
	v_fmac_f32_e32 v1, -0.5, v10
	v_add_f32_e32 v2, v2, v106
	v_mov_b32_e32 v106, v1
	v_fmac_f32_e32 v106, 0xbf737871, v5
	v_fmac_f32_e32 v1, 0x3f737871, v5
	;; [unrolled: 1-line block ×4, first 2 shown]
	v_add_f32_e32 v4, v6, v21
	v_sub_f32_e32 v8, v103, v8
	v_sub_f32_e32 v10, v108, v110
	v_add_f32_e32 v4, v4, v23
	v_add_f32_e32 v8, v8, v10
	;; [unrolled: 1-line block ×3, first 2 shown]
	v_fmac_f32_e32 v106, 0x3e9e377a, v8
	v_fmac_f32_e32 v1, 0x3e9e377a, v8
	v_add_f32_e32 v8, v4, v107
	v_add_f32_e32 v4, v23, v105
	v_fma_f32 v5, -0.5, v4, v6
	v_sub_f32_e32 v4, v20, v104
	v_mov_b32_e32 v10, v5
	v_add_f32_e32 v53, v14, v47
	v_sub_f32_e32 v47, v14, v47
	v_fmac_f32_e32 v10, 0xbf737871, v4
	v_sub_f32_e32 v12, v22, v102
	v_sub_f32_e32 v13, v21, v23
	;; [unrolled: 1-line block ×3, first 2 shown]
	v_fmac_f32_e32 v5, 0x3f737871, v4
	v_fmac_f32_e32 v10, 0xbf167918, v12
	v_add_f32_e32 v13, v13, v14
	v_fmac_f32_e32 v5, 0x3f167918, v12
	v_fmac_f32_e32 v10, 0x3e9e377a, v13
	;; [unrolled: 1-line block ×3, first 2 shown]
	v_add_f32_e32 v13, v21, v107
	v_fmac_f32_e32 v6, -0.5, v13
	v_mov_b32_e32 v13, v6
	v_fmac_f32_e32 v13, 0x3f737871, v12
	v_fmac_f32_e32 v6, 0xbf737871, v12
	;; [unrolled: 1-line block ×4, first 2 shown]
	v_add_f32_e32 v4, v7, v20
	v_add_f32_e32 v4, v4, v22
	;; [unrolled: 1-line block ×5, first 2 shown]
	v_sub_f32_e32 v14, v23, v21
	v_sub_f32_e32 v15, v105, v107
	v_fma_f32 v108, -0.5, v4, v7
	v_add_f32_e32 v14, v14, v15
	v_sub_f32_e32 v4, v21, v107
	v_mov_b32_e32 v15, v108
	v_fmac_f32_e32 v13, 0x3e9e377a, v14
	v_fmac_f32_e32 v6, 0x3e9e377a, v14
	;; [unrolled: 1-line block ×3, first 2 shown]
	v_sub_f32_e32 v12, v23, v105
	v_sub_f32_e32 v14, v20, v22
	;; [unrolled: 1-line block ×3, first 2 shown]
	v_fmac_f32_e32 v108, 0xbf737871, v4
	v_fmac_f32_e32 v15, 0x3f167918, v12
	v_add_f32_e32 v14, v14, v21
	v_fmac_f32_e32 v108, 0xbf167918, v12
	v_fmac_f32_e32 v15, 0x3e9e377a, v14
	;; [unrolled: 1-line block ×3, first 2 shown]
	v_add_f32_e32 v14, v20, v104
	v_fmac_f32_e32 v7, -0.5, v14
	v_mov_b32_e32 v105, v7
	v_sub_f32_e32 v14, v22, v20
	v_sub_f32_e32 v20, v102, v104
	v_fmac_f32_e32 v7, 0x3f737871, v12
	v_add_f32_e32 v14, v14, v20
	v_fmac_f32_e32 v7, 0xbf167918, v4
	v_add_f32_e32 v2, v2, v109
	v_fmac_f32_e32 v7, 0x3e9e377a, v14
	v_mul_f32_e32 v102, 0xbf167918, v15
	v_add_f32_e32 v2, v2, v111
	v_fmac_f32_e32 v102, 0x3f4f1bbd, v10
	v_mul_f32_e32 v107, 0xbf737871, v7
	v_mul_f32_e32 v111, 0xbe9e377a, v7
	v_add_f32_e32 v22, v11, v102
	v_fmac_f32_e32 v107, 0xbe9e377a, v6
	v_fmac_f32_e32 v111, 0x3f737871, v6
	v_sub_f32_e32 v6, v11, v102
	v_mul_u32_u24_e32 v102, 0xf0, v79
	v_mov_b32_e32 v79, 3
	v_lshlrev_b32_sdwa v101, v79, v101 dst_sel:DWORD dst_unused:UNUSED_PAD src0_sel:DWORD src1_sel:BYTE_0
	v_fmac_f32_e32 v105, 0xbf737871, v12
	v_add3_u32 v101, 0, v102, v101
	v_fmac_f32_e32 v105, 0x3f167918, v4
	s_barrier
	ds_write2_b64 v101, v[72:73], v[74:75] offset1:3
	ds_write2_b64 v101, v[66:67], v[70:71] offset0:6 offset1:9
	ds_write2_b64 v101, v[62:63], v[68:69] offset0:12 offset1:15
	;; [unrolled: 1-line block ×4, first 2 shown]
	v_mul_u32_u24_e32 v56, 0xf0, v83
	v_lshlrev_b32_sdwa v57, v79, v100 dst_sel:DWORD dst_unused:UNUSED_PAD src0_sel:DWORD src1_sel:BYTE_0
	v_fmac_f32_e32 v116, 0x3f737871, v49
	v_fmac_f32_e32 v105, 0x3e9e377a, v14
	v_mul_f32_e32 v110, 0x3f4f1bbd, v15
	v_add3_u32 v56, 0, v56, v57
	v_add_f32_e32 v49, v45, v116
	v_sub_f32_e32 v45, v45, v116
	v_mul_f32_e32 v104, 0xbf737871, v105
	v_mul_f32_e32 v109, 0xbf167918, v108
	v_fmac_f32_e32 v110, 0x3f167918, v10
	v_mul_f32_e32 v105, 0x3e9e377a, v105
	v_mul_f32_e32 v108, 0xbf4f1bbd, v108
	ds_write2_b64 v56, v[52:53], v[54:55] offset1:3
	ds_write2_b64 v56, v[48:49], v[50:51] offset0:6 offset1:9
	ds_write2_b64 v56, v[26:27], v[46:47] offset0:12 offset1:15
	;; [unrolled: 1-line block ×4, first 2 shown]
	v_mul_u32_u24_e32 v16, 0xf0, v81
	v_lshlrev_b32_e32 v17, 3, v82
	v_add_f32_e32 v20, v2, v8
	v_fmac_f32_e32 v104, 0x3e9e377a, v13
	v_add_f32_e32 v14, v0, v107
	v_fmac_f32_e32 v109, 0xbf4f1bbd, v5
	v_add_f32_e32 v21, v113, v103
	v_add_f32_e32 v23, v9, v110
	v_fmac_f32_e32 v105, 0x3f737871, v13
	v_fmac_f32_e32 v108, 0x3f167918, v5
	v_sub_f32_e32 v0, v0, v107
	v_add3_u32 v16, 0, v16, v17
	v_add_f32_e32 v12, v112, v104
	v_add_f32_e32 v4, v3, v109
	;; [unrolled: 1-line block ×5, first 2 shown]
	v_sub_f32_e32 v10, v2, v8
	v_sub_f32_e32 v8, v112, v104
	;; [unrolled: 1-line block ×8, first 2 shown]
	ds_write2_b64 v16, v[20:21], v[22:23] offset1:3
	ds_write2_b64 v16, v[12:13], v[14:15] offset0:6 offset1:9
	ds_write2_b64 v16, v[4:5], v[10:11] offset0:12 offset1:15
	;; [unrolled: 1-line block ×4, first 2 shown]
	v_mul_lo_u16_sdwa v0, v32, s4 dst_sel:DWORD dst_unused:UNUSED_PAD src0_sel:BYTE_0 src1_sel:DWORD
	v_lshrrev_b16_e32 v100, 12, v0
	v_mul_lo_u16_e32 v0, 30, v100
	v_mul_u32_u24_sdwa v4, v43, s5 dst_sel:DWORD dst_unused:UNUSED_PAD src0_sel:WORD_0 src1_sel:DWORD
	v_sub_u16_e32 v83, v32, v0
	v_lshrrev_b32_e32 v81, 20, v4
	v_mul_u32_u24_sdwa v0, v83, v80 dst_sel:DWORD dst_unused:UNUSED_PAD src0_sel:BYTE_0 src1_sel:DWORD
	v_mul_lo_u16_e32 v4, 30, v81
	v_lshlrev_b32_e32 v46, 3, v0
	v_sub_u16_e32 v82, v43, v4
	s_waitcnt lgkmcnt(0)
	s_barrier
	global_load_dwordx4 v[0:3], v46, s[8:9] offset:216
	v_mul_u32_u24_e32 v4, 9, v82
	v_lshlrev_b32_e32 v121, 3, v4
	global_load_dwordx4 v[14:17], v121, s[8:9] offset:216
	v_mul_lo_u16_sdwa v4, v28, s4 dst_sel:DWORD dst_unused:UNUSED_PAD src0_sel:BYTE_0 src1_sel:DWORD
	v_lshrrev_b16_e32 v101, 12, v4
	v_mul_lo_u16_e32 v4, 30, v101
	v_sub_u16_e32 v102, v28, v4
	v_mul_u32_u24_sdwa v4, v102, v80 dst_sel:DWORD dst_unused:UNUSED_PAD src0_sel:BYTE_0 src1_sel:DWORD
	v_lshlrev_b32_e32 v4, 3, v4
	global_load_dwordx4 v[18:21], v4, s[8:9] offset:216
	global_load_dwordx4 v[22:25], v4, s[8:9] offset:232
	;; [unrolled: 1-line block ×7, first 2 shown]
	global_load_dwordx2 v[44:45], v4, s[8:9] offset:280
	ds_read_b64 v[26:27], v92
	ds_read_b64 v[119:120], v91
	ds_read2_b64 v[5:8], v77 offset0:104 offset1:194
	global_load_dwordx4 v[68:71], v121, s[8:9] offset:264
	global_load_dwordx4 v[72:75], v121, s[8:9] offset:248
	ds_read2_b64 v[103:106], v94 offset0:56 offset1:146
	ds_read2_b64 v[107:110], v96 offset0:108 offset1:198
	;; [unrolled: 1-line block ×3, first 2 shown]
	global_load_dwordx4 v[115:118], v46, s[8:9] offset:264
	s_movk_i32 s4, 0x1000
	s_waitcnt vmcnt(12) lgkmcnt(3)
	v_mul_f32_e32 v10, v6, v1
	v_mul_f32_e32 v1, v5, v1
	v_fmac_f32_e32 v10, v5, v0
	v_fma_f32 v11, v6, v0, -v1
	s_waitcnt lgkmcnt(0)
	v_mul_f32_e32 v0, v111, v3
	v_fma_f32 v12, v112, v2, -v0
	s_waitcnt vmcnt(11)
	v_mul_f32_e32 v6, v8, v15
	v_mul_f32_e32 v0, v7, v15
	v_fmac_f32_e32 v6, v7, v14
	v_fma_f32 v7, v8, v14, -v0
	ds_read_b64 v[4:5], v84
	ds_read_b64 v[14:15], v87
	v_mul_f32_e32 v9, v114, v17
	v_mul_f32_e32 v0, v113, v17
	v_fmac_f32_e32 v9, v113, v16
	v_fma_f32 v8, v114, v16, -v0
	s_waitcnt vmcnt(10) lgkmcnt(0)
	v_mul_f32_e32 v16, v19, v15
	v_mul_f32_e32 v13, v112, v3
	v_fmac_f32_e32 v16, v18, v14
	v_mul_f32_e32 v14, v19, v14
	v_fmac_f32_e32 v13, v111, v2
	ds_read_b64 v[2:3], v89
	ds_read_b64 v[0:1], v88
	v_fma_f32 v17, v18, v15, -v14
	global_load_dwordx2 v[77:78], v46, s[8:9] offset:280
	v_mul_f32_e32 v14, v21, v26
	v_fma_f32 v123, v20, v27, -v14
	s_waitcnt vmcnt(10)
	v_mul_f32_e32 v51, v23, v120
	v_mul_f32_e32 v14, v23, v119
	v_fmac_f32_e32 v51, v22, v119
	v_fma_f32 v18, v22, v120, -v14
	global_load_dwordx2 v[119:120], v121, s[8:9] offset:280
	ds_read2_b64 v[111:114], v76 offset0:132 offset1:222
	v_mul_f32_e32 v14, v103, v25
	v_mul_f32_e32 v124, v104, v25
	v_fma_f32 v125, v104, v24, -v14
	s_waitcnt vmcnt(10)
	v_mul_f32_e32 v46, v106, v50
	v_mul_f32_e32 v14, v105, v50
	v_fmac_f32_e32 v124, v103, v24
	v_fmac_f32_e32 v46, v105, v49
	v_fma_f32 v23, v106, v49, -v14
	ds_read2_b64 v[103:106], v38 offset0:84 offset1:174
	v_mul_f32_e32 v122, v21, v27
	s_waitcnt lgkmcnt(1)
	v_mul_f32_e32 v14, v111, v48
	v_fmac_f32_e32 v122, v20, v26
	v_mul_f32_e32 v20, v112, v48
	v_fma_f32 v19, v112, v47, -v14
	s_waitcnt vmcnt(9)
	v_mul_f32_e32 v15, v114, v53
	v_mul_f32_e32 v14, v113, v53
	;; [unrolled: 1-line block ×4, first 2 shown]
	v_fmac_f32_e32 v20, v111, v47
	v_fmac_f32_e32 v15, v113, v52
	v_fma_f32 v14, v114, v52, -v14
	ds_read2_b64 v[111:114], v93 offset0:8 offset1:98
	v_fmac_f32_e32 v80, v107, v54
	v_fma_f32 v27, v108, v54, -v21
	s_waitcnt vmcnt(8)
	v_mul_f32_e32 v108, v110, v57
	v_mul_f32_e32 v21, v109, v57
	ds_read2_b64 v[52:55], v98 offset0:160 offset1:250
	v_fmac_f32_e32 v108, v109, v56
	v_fma_f32 v109, v110, v56, -v21
	s_waitcnt lgkmcnt(2)
	v_mul_f32_e32 v110, v104, v59
	v_mul_f32_e32 v21, v103, v59
	v_fmac_f32_e32 v110, v103, v58
	v_fma_f32 v121, v104, v58, -v21
	ds_read2_b64 v[56:59], v97 offset0:112 offset1:202
	s_waitcnt vmcnt(7)
	v_mul_f32_e32 v50, v106, v63
	v_mul_f32_e32 v21, v105, v63
	v_fmac_f32_e32 v50, v105, v62
	v_fma_f32 v49, v106, v62, -v21
	s_waitcnt lgkmcnt(1)
	v_mul_f32_e32 v22, v53, v61
	v_mul_f32_e32 v21, v52, v61
	s_waitcnt vmcnt(3)
	v_mul_f32_e32 v105, v112, v75
	v_mul_f32_e32 v26, v111, v75
	v_fmac_f32_e32 v22, v52, v60
	v_fma_f32 v21, v53, v60, -v21
	v_mul_f32_e32 v25, v55, v73
	v_mul_f32_e32 v24, v54, v73
	ds_read2_b64 v[60:63], v99 offset0:36 offset1:126
	v_fmac_f32_e32 v105, v111, v74
	v_fma_f32 v104, v112, v74, -v26
	v_mul_f32_e32 v111, v114, v65
	v_mul_f32_e32 v26, v113, v65
	v_fmac_f32_e32 v25, v54, v72
	v_fma_f32 v24, v55, v72, -v24
	v_fmac_f32_e32 v111, v113, v64
	v_fma_f32 v64, v114, v64, -v26
	ds_read2_b64 v[72:75], v95 offset0:60 offset1:150
	s_waitcnt lgkmcnt(2)
	v_mul_f32_e32 v65, v57, v67
	v_mul_f32_e32 v26, v56, v67
	v_fmac_f32_e32 v65, v56, v66
	v_fma_f32 v66, v57, v66, -v26
	ds_read2_b64 v[54:57], v33 offset0:88 offset1:178
	s_waitcnt vmcnt(2)
	v_mul_f32_e32 v26, v58, v118
	v_mul_f32_e32 v53, v59, v118
	v_fma_f32 v52, v59, v117, -v26
	s_waitcnt lgkmcnt(2)
	v_mul_f32_e32 v26, v62, v45
	v_fmac_f32_e32 v53, v58, v117
	v_mul_f32_e32 v58, v63, v45
	v_fma_f32 v59, v63, v44, -v26
	s_waitcnt lgkmcnt(1)
	v_mul_f32_e32 v26, v72, v116
	v_fmac_f32_e32 v58, v62, v44
	v_fma_f32 v44, v73, v115, -v26
	s_waitcnt vmcnt(1) lgkmcnt(0)
	v_mul_f32_e32 v26, v54, v78
	v_mul_f32_e32 v48, v55, v78
	v_fma_f32 v45, v55, v77, -v26
	v_add_f32_e32 v55, v124, v110
	v_fmac_f32_e32 v48, v54, v77
	v_mul_f32_e32 v107, v61, v71
	v_mul_f32_e32 v54, v60, v71
	s_waitcnt vmcnt(0)
	v_mul_f32_e32 v103, v57, v120
	v_fma_f32 v55, -0.5, v55, v4
	v_fmac_f32_e32 v107, v60, v70
	v_fma_f32 v106, v61, v70, -v54
	v_fmac_f32_e32 v103, v56, v119
	v_mul_f32_e32 v54, v56, v120
	v_sub_f32_e32 v56, v123, v66
	v_mov_b32_e32 v60, v55
	v_fma_f32 v77, v57, v119, -v54
	v_fmac_f32_e32 v60, 0xbf737871, v56
	v_sub_f32_e32 v57, v125, v121
	v_sub_f32_e32 v61, v122, v124
	;; [unrolled: 1-line block ×3, first 2 shown]
	v_fmac_f32_e32 v55, 0x3f737871, v56
	v_fmac_f32_e32 v60, 0xbf167918, v57
	v_add_f32_e32 v61, v61, v62
	v_fmac_f32_e32 v55, 0x3f167918, v57
	v_fmac_f32_e32 v60, 0x3e9e377a, v61
	;; [unrolled: 1-line block ×3, first 2 shown]
	v_add_f32_e32 v61, v122, v65
	v_add_f32_e32 v54, v4, v122
	v_fma_f32 v4, -0.5, v61, v4
	v_mov_b32_e32 v61, v4
	v_fmac_f32_e32 v61, 0x3f737871, v57
	v_fmac_f32_e32 v4, 0xbf737871, v57
	;; [unrolled: 1-line block ×4, first 2 shown]
	v_add_f32_e32 v56, v5, v123
	v_add_f32_e32 v56, v56, v125
	v_sub_f32_e32 v62, v124, v122
	v_sub_f32_e32 v63, v110, v65
	v_add_f32_e32 v56, v56, v121
	v_add_f32_e32 v54, v54, v124
	;; [unrolled: 1-line block ×6, first 2 shown]
	v_fma_f32 v112, -0.5, v56, v5
	v_add_f32_e32 v54, v54, v65
	v_sub_f32_e32 v56, v122, v65
	v_mov_b32_e32 v65, v112
	v_fmac_f32_e32 v61, 0x3e9e377a, v62
	v_fmac_f32_e32 v4, 0x3e9e377a, v62
	;; [unrolled: 1-line block ×3, first 2 shown]
	v_sub_f32_e32 v57, v124, v110
	v_sub_f32_e32 v62, v123, v125
	;; [unrolled: 1-line block ×3, first 2 shown]
	v_fmac_f32_e32 v112, 0xbf737871, v56
	v_fmac_f32_e32 v65, 0x3f167918, v57
	v_add_f32_e32 v62, v62, v67
	v_fmac_f32_e32 v112, 0xbf167918, v57
	v_fmac_f32_e32 v65, 0x3e9e377a, v62
	;; [unrolled: 1-line block ×3, first 2 shown]
	v_add_f32_e32 v62, v123, v66
	v_fmac_f32_e32 v5, -0.5, v62
	v_mov_b32_e32 v110, v5
	v_fmac_f32_e32 v110, 0xbf737871, v57
	v_fmac_f32_e32 v5, 0x3f737871, v57
	;; [unrolled: 1-line block ×4, first 2 shown]
	v_add_f32_e32 v56, v16, v51
	v_sub_f32_e32 v62, v125, v123
	v_sub_f32_e32 v66, v121, v66
	v_add_f32_e32 v56, v56, v108
	v_add_f32_e32 v62, v62, v66
	;; [unrolled: 1-line block ×3, first 2 shown]
	v_fmac_f32_e32 v110, 0x3e9e377a, v62
	v_fmac_f32_e32 v5, 0x3e9e377a, v62
	v_add_f32_e32 v62, v56, v58
	v_add_f32_e32 v56, v108, v111
	v_fma_f32 v57, -0.5, v56, v16
	v_mul_f32_e32 v78, v75, v69
	v_mul_f32_e32 v26, v74, v69
	v_sub_f32_e32 v56, v18, v59
	v_mov_b32_e32 v67, v57
	v_fmac_f32_e32 v78, v74, v68
	v_fma_f32 v26, v75, v68, -v26
	v_fmac_f32_e32 v67, 0xbf737871, v56
	v_sub_f32_e32 v66, v109, v64
	v_sub_f32_e32 v68, v51, v108
	;; [unrolled: 1-line block ×3, first 2 shown]
	v_fmac_f32_e32 v57, 0x3f737871, v56
	v_fmac_f32_e32 v67, 0xbf167918, v66
	v_add_f32_e32 v68, v68, v69
	v_fmac_f32_e32 v57, 0x3f167918, v66
	v_fmac_f32_e32 v67, 0x3e9e377a, v68
	;; [unrolled: 1-line block ×3, first 2 shown]
	v_add_f32_e32 v68, v51, v58
	v_fmac_f32_e32 v16, -0.5, v68
	v_mov_b32_e32 v68, v16
	v_fmac_f32_e32 v68, 0x3f737871, v66
	v_fmac_f32_e32 v16, 0xbf737871, v66
	;; [unrolled: 1-line block ×4, first 2 shown]
	v_add_f32_e32 v56, v17, v18
	v_sub_f32_e32 v69, v108, v51
	v_sub_f32_e32 v70, v111, v58
	v_add_f32_e32 v56, v56, v109
	v_add_f32_e32 v69, v69, v70
	v_add_f32_e32 v56, v56, v64
	v_fmac_f32_e32 v68, 0x3e9e377a, v69
	v_fmac_f32_e32 v16, 0x3e9e377a, v69
	v_add_f32_e32 v69, v56, v59
	v_add_f32_e32 v56, v109, v64
	v_fma_f32 v113, -0.5, v56, v17
	v_sub_f32_e32 v51, v51, v58
	v_mov_b32_e32 v58, v113
	v_fmac_f32_e32 v58, 0x3f737871, v51
	v_sub_f32_e32 v56, v108, v111
	v_sub_f32_e32 v66, v18, v109
	;; [unrolled: 1-line block ×3, first 2 shown]
	v_fmac_f32_e32 v113, 0xbf737871, v51
	v_fmac_f32_e32 v58, 0x3f167918, v56
	v_add_f32_e32 v66, v66, v70
	v_fmac_f32_e32 v113, 0xbf167918, v56
	v_fmac_f32_e32 v58, 0x3e9e377a, v66
	;; [unrolled: 1-line block ×3, first 2 shown]
	v_add_f32_e32 v66, v18, v59
	v_fmac_f32_e32 v17, -0.5, v66
	v_mov_b32_e32 v71, v17
	v_sub_f32_e32 v18, v109, v18
	v_sub_f32_e32 v59, v64, v59
	v_fmac_f32_e32 v17, 0x3f737871, v56
	v_add_f32_e32 v18, v18, v59
	v_fmac_f32_e32 v17, 0xbf167918, v51
	v_fmac_f32_e32 v71, 0xbf737871, v56
	v_fmac_f32_e32 v17, 0x3e9e377a, v18
	v_fmac_f32_e32 v71, 0x3f167918, v51
	v_mul_f32_e32 v59, 0xbf737871, v17
	v_mul_f32_e32 v17, 0xbe9e377a, v17
	v_fmac_f32_e32 v71, 0x3e9e377a, v18
	v_fmac_f32_e32 v59, 0xbe9e377a, v16
	;; [unrolled: 1-line block ×3, first 2 shown]
	v_mul_f32_e32 v18, 0xbf167918, v58
	v_mul_f32_e32 v51, 0xbf737871, v71
	v_add_f32_e32 v70, v4, v59
	v_mul_f32_e32 v109, 0x3f4f1bbd, v58
	v_mul_f32_e32 v111, 0x3e9e377a, v71
	v_add_f32_e32 v71, v5, v17
	v_mul_f32_e32 v16, 0xbf4f1bbd, v113
	v_sub_f32_e32 v58, v4, v59
	v_sub_f32_e32 v59, v5, v17
	v_add_f32_e32 v5, v46, v50
	v_fmac_f32_e32 v51, 0x3e9e377a, v68
	v_mul_f32_e32 v108, 0xbf167918, v113
	v_fmac_f32_e32 v16, 0x3f167918, v57
	v_fma_f32 v5, -0.5, v5, v2
	v_mul_f32_e32 v47, v73, v116
	v_fmac_f32_e32 v18, 0x3f4f1bbd, v67
	v_add_f32_e32 v66, v61, v51
	v_fmac_f32_e32 v108, 0xbf4f1bbd, v57
	v_add_f32_e32 v57, v112, v16
	v_sub_f32_e32 v64, v61, v51
	v_sub_f32_e32 v61, v112, v16
	v_sub_f32_e32 v16, v12, v52
	v_mov_b32_e32 v17, v5
	v_fmac_f32_e32 v47, v72, v115
	v_add_f32_e32 v72, v54, v62
	v_add_f32_e32 v74, v60, v18
	v_fmac_f32_e32 v111, 0x3f737871, v68
	v_sub_f32_e32 v68, v54, v62
	v_sub_f32_e32 v62, v60, v18
	v_fmac_f32_e32 v17, 0xbf737871, v16
	v_sub_f32_e32 v18, v23, v49
	v_sub_f32_e32 v51, v13, v46
	;; [unrolled: 1-line block ×3, first 2 shown]
	v_fmac_f32_e32 v5, 0x3f737871, v16
	v_fmac_f32_e32 v17, 0xbf167918, v18
	v_add_f32_e32 v51, v51, v54
	v_fmac_f32_e32 v5, 0x3f167918, v18
	v_fmac_f32_e32 v17, 0x3e9e377a, v51
	;; [unrolled: 1-line block ×3, first 2 shown]
	v_add_f32_e32 v51, v13, v53
	v_add_f32_e32 v4, v2, v13
	v_fma_f32 v2, -0.5, v51, v2
	v_add_f32_e32 v56, v55, v108
	v_sub_f32_e32 v60, v55, v108
	v_mov_b32_e32 v108, v2
	v_fmac_f32_e32 v108, 0x3f737871, v18
	v_fmac_f32_e32 v2, 0xbf737871, v18
	;; [unrolled: 1-line block ×4, first 2 shown]
	v_add_f32_e32 v16, v3, v12
	v_add_f32_e32 v16, v16, v23
	v_fmac_f32_e32 v109, 0x3f167918, v67
	v_add_f32_e32 v16, v16, v49
	v_add_f32_e32 v73, v63, v69
	;; [unrolled: 1-line block ×3, first 2 shown]
	v_sub_f32_e32 v69, v63, v69
	v_sub_f32_e32 v63, v65, v109
	v_add_f32_e32 v109, v16, v52
	v_add_f32_e32 v16, v23, v49
	;; [unrolled: 1-line block ×3, first 2 shown]
	v_sub_f32_e32 v65, v110, v111
	v_fma_f32 v110, -0.5, v16, v3
	v_sub_f32_e32 v51, v46, v13
	v_sub_f32_e32 v13, v13, v53
	v_mov_b32_e32 v111, v110
	v_add_f32_e32 v4, v4, v46
	v_fmac_f32_e32 v111, 0x3f737871, v13
	v_sub_f32_e32 v16, v46, v50
	v_sub_f32_e32 v18, v12, v23
	;; [unrolled: 1-line block ×3, first 2 shown]
	v_fmac_f32_e32 v110, 0xbf737871, v13
	v_fmac_f32_e32 v111, 0x3f167918, v16
	v_add_f32_e32 v18, v18, v46
	v_fmac_f32_e32 v110, 0xbf167918, v16
	v_fmac_f32_e32 v111, 0x3e9e377a, v18
	;; [unrolled: 1-line block ×3, first 2 shown]
	v_add_f32_e32 v18, v12, v52
	v_fmac_f32_e32 v3, -0.5, v18
	v_mov_b32_e32 v112, v3
	v_fmac_f32_e32 v112, 0xbf737871, v16
	v_fmac_f32_e32 v3, 0x3f737871, v16
	;; [unrolled: 1-line block ×4, first 2 shown]
	v_add_f32_e32 v13, v22, v47
	v_sub_f32_e32 v12, v23, v12
	v_sub_f32_e32 v18, v49, v52
	v_fma_f32 v13, -0.5, v13, v10
	v_add_f32_e32 v12, v12, v18
	v_sub_f32_e32 v16, v19, v45
	v_mov_b32_e32 v18, v13
	v_fmac_f32_e32 v18, 0xbf737871, v16
	v_sub_f32_e32 v23, v21, v44
	v_sub_f32_e32 v46, v20, v22
	;; [unrolled: 1-line block ×3, first 2 shown]
	v_fmac_f32_e32 v13, 0x3f737871, v16
	v_fmac_f32_e32 v18, 0xbf167918, v23
	v_add_f32_e32 v46, v46, v49
	v_fmac_f32_e32 v13, 0x3f167918, v23
	v_fmac_f32_e32 v18, 0x3e9e377a, v46
	;; [unrolled: 1-line block ×3, first 2 shown]
	v_add_f32_e32 v46, v20, v48
	v_fmac_f32_e32 v112, 0x3e9e377a, v12
	v_fmac_f32_e32 v3, 0x3e9e377a, v12
	v_add_f32_e32 v12, v10, v20
	v_fmac_f32_e32 v10, -0.5, v46
	v_mov_b32_e32 v46, v10
	v_fmac_f32_e32 v46, 0x3f737871, v23
	v_fmac_f32_e32 v10, 0xbf737871, v23
	;; [unrolled: 1-line block ×4, first 2 shown]
	v_add_f32_e32 v16, v11, v19
	v_add_f32_e32 v16, v16, v21
	;; [unrolled: 1-line block ×4, first 2 shown]
	v_sub_f32_e32 v54, v50, v53
	v_sub_f32_e32 v49, v22, v20
	;; [unrolled: 1-line block ×3, first 2 shown]
	v_add_f32_e32 v23, v16, v45
	v_add_f32_e32 v16, v21, v44
	;; [unrolled: 1-line block ×4, first 2 shown]
	v_fma_f32 v16, -0.5, v16, v11
	v_add_f32_e32 v12, v12, v47
	v_fmac_f32_e32 v46, 0x3e9e377a, v49
	v_fmac_f32_e32 v10, 0x3e9e377a, v49
	v_sub_f32_e32 v20, v20, v48
	v_mov_b32_e32 v49, v16
	v_add_f32_e32 v12, v12, v48
	v_fmac_f32_e32 v49, 0x3f737871, v20
	v_sub_f32_e32 v22, v22, v47
	v_sub_f32_e32 v47, v19, v21
	;; [unrolled: 1-line block ×3, first 2 shown]
	v_fmac_f32_e32 v16, 0xbf737871, v20
	v_fmac_f32_e32 v49, 0x3f167918, v22
	v_add_f32_e32 v47, v47, v48
	v_fmac_f32_e32 v16, 0xbf167918, v22
	v_fmac_f32_e32 v49, 0x3e9e377a, v47
	;; [unrolled: 1-line block ×3, first 2 shown]
	v_add_f32_e32 v47, v19, v45
	v_fmac_f32_e32 v11, -0.5, v47
	v_mov_b32_e32 v47, v11
	v_sub_f32_e32 v19, v21, v19
	v_sub_f32_e32 v21, v44, v45
	v_fmac_f32_e32 v11, 0x3f737871, v22
	v_fmac_f32_e32 v47, 0xbf737871, v22
	v_add_f32_e32 v19, v19, v21
	v_fmac_f32_e32 v11, 0xbf167918, v20
	v_fmac_f32_e32 v47, 0x3f167918, v20
	v_fmac_f32_e32 v11, 0x3e9e377a, v19
	v_fmac_f32_e32 v47, 0x3e9e377a, v19
	v_mul_f32_e32 v19, 0xbf167918, v49
	v_mul_f32_e32 v113, 0xbf737871, v11
	;; [unrolled: 1-line block ×3, first 2 shown]
	v_add_f32_e32 v51, v51, v54
	v_fmac_f32_e32 v19, 0x3f4f1bbd, v18
	v_fmac_f32_e32 v11, 0x3f737871, v10
	;; [unrolled: 1-line block ×4, first 2 shown]
	v_add_f32_e32 v54, v17, v19
	v_add_f32_e32 v51, v3, v11
	v_sub_f32_e32 v20, v17, v19
	v_sub_f32_e32 v17, v3, v11
	v_add_f32_e32 v3, v80, v105
	v_add_f32_e32 v4, v4, v53
	v_mul_f32_e32 v21, 0xbf737871, v47
	v_fmac_f32_e32 v113, 0xbe9e377a, v10
	v_mul_f32_e32 v114, 0xbf167918, v16
	v_mul_f32_e32 v116, 0x3e9e377a, v47
	;; [unrolled: 1-line block ×3, first 2 shown]
	v_fma_f32 v3, -0.5, v3, v0
	v_add_f32_e32 v52, v4, v12
	v_fmac_f32_e32 v21, 0x3e9e377a, v46
	v_fmac_f32_e32 v114, 0xbf4f1bbd, v13
	v_mul_f32_e32 v115, 0x3f4f1bbd, v49
	v_fmac_f32_e32 v116, 0x3f737871, v46
	v_fmac_f32_e32 v10, 0x3f167918, v13
	v_sub_f32_e32 v46, v4, v12
	v_sub_f32_e32 v4, v8, v106
	v_mov_b32_e32 v11, v3
	v_add_f32_e32 v44, v5, v114
	v_fmac_f32_e32 v115, 0x3f167918, v18
	v_add_f32_e32 v45, v110, v10
	v_sub_f32_e32 v18, v5, v114
	v_sub_f32_e32 v19, v110, v10
	v_fmac_f32_e32 v11, 0xbf737871, v4
	v_sub_f32_e32 v5, v27, v104
	v_sub_f32_e32 v10, v9, v80
	;; [unrolled: 1-line block ×3, first 2 shown]
	v_fmac_f32_e32 v3, 0x3f737871, v4
	v_fmac_f32_e32 v11, 0xbf167918, v5
	v_add_f32_e32 v10, v10, v12
	v_fmac_f32_e32 v3, 0x3f167918, v5
	v_fmac_f32_e32 v11, 0x3e9e377a, v10
	;; [unrolled: 1-line block ×3, first 2 shown]
	v_add_f32_e32 v10, v9, v107
	v_add_f32_e32 v50, v2, v113
	v_sub_f32_e32 v16, v2, v113
	v_add_f32_e32 v2, v0, v9
	v_fma_f32 v0, -0.5, v10, v0
	v_add_f32_e32 v48, v108, v21
	v_sub_f32_e32 v22, v108, v21
	v_mov_b32_e32 v108, v0
	v_fmac_f32_e32 v108, 0x3f737871, v5
	v_fmac_f32_e32 v0, 0xbf737871, v5
	;; [unrolled: 1-line block ×4, first 2 shown]
	v_add_f32_e32 v4, v1, v8
	v_add_f32_e32 v4, v4, v27
	;; [unrolled: 1-line block ×4, first 2 shown]
	v_sub_f32_e32 v47, v109, v23
	v_add_f32_e32 v109, v4, v106
	v_add_f32_e32 v4, v27, v104
	v_sub_f32_e32 v10, v80, v9
	v_sub_f32_e32 v12, v105, v107
	v_fma_f32 v110, -0.5, v4, v1
	v_add_f32_e32 v10, v10, v12
	v_sub_f32_e32 v4, v9, v107
	v_mov_b32_e32 v9, v110
	v_fmac_f32_e32 v108, 0x3e9e377a, v10
	v_fmac_f32_e32 v0, 0x3e9e377a, v10
	v_fmac_f32_e32 v9, 0x3f737871, v4
	v_sub_f32_e32 v5, v80, v105
	v_sub_f32_e32 v10, v8, v27
	;; [unrolled: 1-line block ×3, first 2 shown]
	v_fmac_f32_e32 v110, 0xbf737871, v4
	v_fmac_f32_e32 v9, 0x3f167918, v5
	v_add_f32_e32 v10, v10, v12
	v_fmac_f32_e32 v110, 0xbf167918, v5
	v_fmac_f32_e32 v9, 0x3e9e377a, v10
	;; [unrolled: 1-line block ×3, first 2 shown]
	v_add_f32_e32 v10, v8, v106
	v_fmac_f32_e32 v1, -0.5, v10
	v_add_f32_e32 v2, v2, v80
	v_mov_b32_e32 v80, v1
	v_fmac_f32_e32 v80, 0xbf737871, v5
	v_fmac_f32_e32 v1, 0x3f737871, v5
	;; [unrolled: 1-line block ×4, first 2 shown]
	v_add_f32_e32 v4, v6, v15
	v_sub_f32_e32 v8, v27, v8
	v_sub_f32_e32 v10, v104, v106
	v_add_f32_e32 v4, v4, v25
	v_add_f32_e32 v8, v8, v10
	;; [unrolled: 1-line block ×3, first 2 shown]
	v_fmac_f32_e32 v80, 0x3e9e377a, v8
	v_fmac_f32_e32 v1, 0x3e9e377a, v8
	v_add_f32_e32 v8, v4, v103
	v_add_f32_e32 v4, v25, v78
	v_fma_f32 v5, -0.5, v4, v6
	v_sub_f32_e32 v4, v14, v77
	v_mov_b32_e32 v10, v5
	v_fmac_f32_e32 v10, 0xbf737871, v4
	v_sub_f32_e32 v12, v24, v26
	v_sub_f32_e32 v13, v15, v25
	;; [unrolled: 1-line block ×3, first 2 shown]
	v_fmac_f32_e32 v5, 0x3f737871, v4
	v_fmac_f32_e32 v10, 0xbf167918, v12
	v_add_f32_e32 v13, v13, v27
	v_fmac_f32_e32 v5, 0x3f167918, v12
	v_fmac_f32_e32 v10, 0x3e9e377a, v13
	;; [unrolled: 1-line block ×3, first 2 shown]
	v_add_f32_e32 v13, v15, v103
	v_fmac_f32_e32 v6, -0.5, v13
	v_mov_b32_e32 v13, v6
	v_fmac_f32_e32 v13, 0x3f737871, v12
	v_fmac_f32_e32 v6, 0xbf737871, v12
	;; [unrolled: 1-line block ×4, first 2 shown]
	v_add_f32_e32 v4, v7, v14
	v_add_f32_e32 v4, v4, v24
	v_sub_f32_e32 v27, v25, v15
	v_sub_f32_e32 v104, v78, v103
	v_add_f32_e32 v4, v4, v26
	v_add_f32_e32 v27, v27, v104
	;; [unrolled: 1-line block ×5, first 2 shown]
	v_fma_f32 v105, -0.5, v4, v7
	v_sub_f32_e32 v4, v15, v103
	v_mov_b32_e32 v15, v105
	v_fmac_f32_e32 v13, 0x3e9e377a, v27
	v_fmac_f32_e32 v6, 0x3e9e377a, v27
	v_fmac_f32_e32 v15, 0x3f737871, v4
	v_sub_f32_e32 v12, v25, v78
	v_sub_f32_e32 v25, v14, v24
	v_sub_f32_e32 v27, v77, v26
	v_fmac_f32_e32 v105, 0xbf737871, v4
	v_fmac_f32_e32 v15, 0x3f167918, v12
	v_add_f32_e32 v25, v25, v27
	v_fmac_f32_e32 v105, 0xbf167918, v12
	v_fmac_f32_e32 v15, 0x3e9e377a, v25
	;; [unrolled: 1-line block ×3, first 2 shown]
	v_add_f32_e32 v25, v14, v77
	v_fmac_f32_e32 v7, -0.5, v25
	v_mov_b32_e32 v78, v7
	v_fmac_f32_e32 v78, 0xbf737871, v12
	v_sub_f32_e32 v14, v24, v14
	v_sub_f32_e32 v24, v26, v77
	v_fmac_f32_e32 v78, 0x3f167918, v4
	v_add_f32_e32 v14, v14, v24
	v_fmac_f32_e32 v7, 0x3f737871, v12
	v_fmac_f32_e32 v78, 0x3e9e377a, v14
	;; [unrolled: 1-line block ×3, first 2 shown]
	v_add_f32_e32 v55, v111, v115
	v_sub_f32_e32 v21, v111, v115
	v_fmac_f32_e32 v7, 0x3e9e377a, v14
	v_mul_f32_e32 v77, 0xbf167918, v15
	v_mul_f32_e32 v103, 0xbf737871, v78
	;; [unrolled: 1-line block ×4, first 2 shown]
	v_add_f32_e32 v49, v112, v116
	v_sub_f32_e32 v23, v112, v116
	v_fmac_f32_e32 v77, 0x3f4f1bbd, v10
	v_mul_f32_e32 v106, 0xbf737871, v7
	v_fmac_f32_e32 v111, 0x3f167918, v10
	v_fmac_f32_e32 v78, 0x3f737871, v13
	v_mul_f32_e32 v112, 0xbe9e377a, v7
	v_add_f32_e32 v26, v11, v77
	v_fmac_f32_e32 v103, 0x3e9e377a, v13
	v_fmac_f32_e32 v106, 0xbe9e377a, v6
	v_add_f32_e32 v27, v9, v111
	v_add_f32_e32 v13, v80, v78
	v_fmac_f32_e32 v112, 0x3f737871, v6
	v_sub_f32_e32 v6, v11, v77
	v_sub_f32_e32 v7, v9, v111
	;; [unrolled: 1-line block ×3, first 2 shown]
	v_mul_u32_u24_e32 v77, 0x960, v101
	v_lshlrev_b32_sdwa v78, v79, v102 dst_sel:DWORD dst_unused:UNUSED_PAD src0_sel:DWORD src1_sel:BYTE_0
	v_add3_u32 v77, 0, v77, v78
	s_barrier
	ds_write2_b64 v77, v[72:73], v[74:75] offset1:30
	ds_write2_b64 v77, v[66:67], v[70:71] offset0:60 offset1:90
	ds_write2_b64 v77, v[56:57], v[68:69] offset0:120 offset1:150
	;; [unrolled: 1-line block ×3, first 2 shown]
	v_add_u32_e32 v56, 0x400, v77
	ds_write2_b64 v56, v[58:59], v[60:61] offset0:112 offset1:142
	v_mul_u32_u24_e32 v56, 0x960, v100
	v_lshlrev_b32_sdwa v57, v79, v83 dst_sel:DWORD dst_unused:UNUSED_PAD src0_sel:DWORD src1_sel:BYTE_0
	v_add3_u32 v56, 0, v56, v57
	v_add_f32_e32 v2, v2, v107
	v_mul_f32_e32 v107, 0xbf167918, v105
	ds_write2_b64 v56, v[52:53], v[54:55] offset1:30
	ds_write2_b64 v56, v[48:49], v[50:51] offset0:60 offset1:90
	ds_write2_b64 v56, v[44:45], v[46:47] offset0:120 offset1:150
	;; [unrolled: 1-line block ×3, first 2 shown]
	v_add_u32_e32 v20, 0x400, v56
	v_fmac_f32_e32 v107, 0xbf4f1bbd, v5
	v_mul_f32_e32 v105, 0xbf4f1bbd, v105
	ds_write2_b64 v20, v[16:17], v[18:19] offset0:112 offset1:142
	v_mul_u32_u24_e32 v16, 0x960, v81
	v_lshlrev_b32_e32 v17, 3, v82
	v_add_f32_e32 v24, v2, v8
	v_add_f32_e32 v4, v3, v107
	v_add_f32_e32 v25, v109, v104
	v_fmac_f32_e32 v105, 0x3f167918, v5
	v_add3_u32 v16, 0, v16, v17
	v_add_f32_e32 v12, v108, v103
	v_add_f32_e32 v14, v0, v106
	;; [unrolled: 1-line block ×4, first 2 shown]
	v_sub_f32_e32 v10, v2, v8
	v_sub_f32_e32 v8, v108, v103
	;; [unrolled: 1-line block ×7, first 2 shown]
	ds_write2_b64 v16, v[24:25], v[26:27] offset1:30
	ds_write2_b64 v16, v[12:13], v[14:15] offset0:60 offset1:90
	ds_write2_b64 v16, v[4:5], v[10:11] offset0:120 offset1:150
	;; [unrolled: 1-line block ×3, first 2 shown]
	v_add_u32_e32 v4, 0x400, v16
	ds_write2_b64 v4, v[0:1], v[2:3] offset0:112 offset1:142
	v_lshlrev_b32_e32 v0, 1, v28
	v_mov_b32_e32 v1, 0
	v_lshlrev_b64 v[2:3], 3, v[0:1]
	v_mov_b32_e32 v104, s9
	v_add_co_u32_e32 v4, vcc, s8, v2
	v_addc_co_u32_e32 v5, vcc, v104, v3, vcc
	v_lshlrev_b32_e32 v2, 1, v32
	v_mov_b32_e32 v3, v1
	v_lshlrev_b64 v[2:3], 3, v[2:3]
	v_lshlrev_b32_e32 v6, 1, v43
	v_mov_b32_e32 v7, v1
	v_add_co_u32_e32 v2, vcc, s8, v2
	v_lshlrev_b64 v[6:7], 3, v[6:7]
	v_addc_co_u32_e32 v3, vcc, v104, v3, vcc
	v_add_co_u32_e32 v6, vcc, s8, v6
	v_addc_co_u32_e32 v7, vcc, v104, v7, vcc
	v_subrev_u32_e32 v12, 30, v28
	v_cmp_gt_u32_e32 vcc, 30, v28
	v_cndmask_b32_e32 v109, v12, v42, vcc
	v_lshlrev_b32_e32 v12, 1, v109
	v_mov_b32_e32 v13, v1
	v_lshlrev_b64 v[12:13], 3, v[12:13]
	s_waitcnt lgkmcnt(0)
	v_add_co_u32_e32 v12, vcc, s8, v12
	v_addc_co_u32_e32 v13, vcc, v104, v13, vcc
	s_barrier
	global_load_dwordx4 v[44:47], v[6:7], off offset:2376
	global_load_dwordx4 v[48:51], v[12:13], off offset:2376
	v_add_u32_e32 v12, 0x78, v0
	v_mov_b32_e32 v13, v1
	v_add_u32_e32 v0, 0x12c, v0
	v_lshlrev_b64 v[12:13], 3, v[12:13]
	v_lshlrev_b64 v[14:15], 3, v[0:1]
	v_lshrrev_b16_e32 v0, 2, v41
	v_mul_u32_u24_e32 v0, 0x6d3b, v0
	v_add_co_u32_e32 v12, vcc, s8, v12
	v_lshrrev_b32_e32 v107, 21, v0
	global_load_dwordx4 v[8:11], v[4:5], off offset:2376
	global_load_dwordx4 v[24:27], v[2:3], off offset:2376
	v_addc_co_u32_e32 v13, vcc, v104, v13, vcc
	v_mul_lo_u16_e32 v0, 0x12c, v107
	v_add_co_u32_e32 v14, vcc, s8, v14
	v_sub_u16_e32 v108, v41, v0
	v_addc_co_u32_e32 v15, vcc, v104, v15, vcc
	v_lshlrev_b32_e32 v0, 4, v108
	ds_read_b64 v[18:19], v84
	global_load_dwordx4 v[52:55], v[12:13], off offset:2376
	ds_read2_b64 v[56:59], v76 offset0:132 offset1:222
	ds_read2_b64 v[60:63], v93 offset0:8 offset1:98
	ds_read_b64 v[12:13], v88
	global_load_dwordx4 v[64:67], v[14:15], off offset:2376
	ds_read2_b64 v[68:71], v94 offset0:56 offset1:146
	ds_read2_b64 v[72:75], v95 offset0:60 offset1:150
	global_load_dwordx4 v[76:79], v0, s[8:9] offset:2376
	v_lshrrev_b16_e32 v0, 2, v36
	v_mul_u32_u24_e32 v0, 0x6d3b, v0
	v_lshrrev_b32_e32 v0, 21, v0
	v_mul_lo_u16_e32 v0, 0x12c, v0
	v_sub_u16_e32 v106, v36, v0
	v_lshlrev_b32_e32 v0, 4, v106
	ds_read_b64 v[22:23], v89
	ds_read_b64 v[16:17], v87
	global_load_dwordx4 v[80:83], v0, s[8:9] offset:2376
	v_lshrrev_b16_e32 v0, 2, v35
	v_mul_u32_u24_e32 v0, 0x6d3b, v0
	v_lshrrev_b32_e32 v0, 21, v0
	v_mul_lo_u16_e32 v0, 0x12c, v0
	v_sub_u16_e32 v0, v35, v0
	v_lshlrev_b32_e32 v14, 4, v0
	global_load_dwordx4 v[110:113], v14, s[8:9] offset:2376
	v_lshrrev_b16_e32 v14, 2, v34
	v_mul_u32_u24_e32 v14, 0x6d3b, v14
	v_lshrrev_b32_e32 v14, 21, v14
	v_mul_lo_u16_e32 v14, 0x12c, v14
	v_sub_u16_e32 v105, v34, v14
	v_lshlrev_b32_e32 v14, 4, v105
	global_load_dwordx4 v[114:117], v14, s[8:9] offset:2376
	v_lshl_add_u32 v103, v37, 3, 0
	v_lshl_add_u32 v102, v39, 3, 0
	;; [unrolled: 1-line block ×4, first 2 shown]
	v_cmp_lt_u32_e32 vcc, 29, v28
	v_lshl_add_u32 v0, v0, 3, 0
	s_waitcnt vmcnt(8) lgkmcnt(3)
	v_mul_f32_e32 v119, v71, v49
	s_waitcnt lgkmcnt(2)
	v_mul_f32_e32 v121, v75, v51
	v_fmac_f32_e32 v119, v70, v48
	v_fmac_f32_e32 v121, v74, v50
	s_waitcnt vmcnt(7)
	v_mul_f32_e32 v118, v9, v57
	v_mul_f32_e32 v9, v9, v56
	v_fmac_f32_e32 v118, v8, v56
	v_fma_f32 v56, v8, v57, -v9
	v_mul_f32_e32 v57, v11, v61
	v_mul_f32_e32 v8, v11, v60
	v_fmac_f32_e32 v57, v10, v60
	v_fma_f32 v60, v10, v61, -v8
	s_waitcnt vmcnt(6)
	v_mul_f32_e32 v61, v59, v25
	v_mul_f32_e32 v8, v58, v25
	v_fmac_f32_e32 v61, v58, v24
	v_fma_f32 v58, v59, v24, -v8
	ds_read2_b64 v[8:11], v96 offset0:108 offset1:198
	v_mul_f32_e32 v59, v63, v27
	v_mul_f32_e32 v14, v62, v27
	v_fmac_f32_e32 v59, v62, v26
	v_fma_f32 v62, v63, v26, -v14
	v_mul_f32_e32 v63, v69, v45
	v_mul_f32_e32 v14, v68, v45
	ds_read2_b64 v[24:27], v97 offset0:112 offset1:202
	v_fmac_f32_e32 v63, v68, v44
	v_fma_f32 v68, v69, v44, -v14
	v_mul_f32_e32 v14, v72, v47
	v_mul_f32_e32 v69, v73, v47
	v_fma_f32 v73, v73, v46, -v14
	v_mul_f32_e32 v14, v70, v49
	v_fmac_f32_e32 v69, v72, v46
	v_fma_f32 v120, v71, v48, -v14
	v_mul_f32_e32 v14, v74, v51
	ds_read2_b64 v[44:47], v98 offset0:160 offset1:250
	v_fma_f32 v122, v75, v50, -v14
	s_waitcnt vmcnt(5) lgkmcnt(2)
	v_mul_f32_e32 v123, v9, v53
	ds_read2_b64 v[48:51], v99 offset0:36 offset1:126
	v_fmac_f32_e32 v123, v8, v52
	v_mul_f32_e32 v8, v8, v53
	v_fma_f32 v52, v9, v52, -v8
	s_waitcnt lgkmcnt(2)
	v_mul_f32_e32 v53, v25, v55
	v_mul_f32_e32 v8, v24, v55
	v_fmac_f32_e32 v53, v24, v54
	v_fma_f32 v54, v25, v54, -v8
	s_waitcnt vmcnt(4)
	v_mul_f32_e32 v8, v10, v65
	v_mul_f32_e32 v55, v11, v65
	v_fma_f32 v124, v11, v64, -v8
	v_mul_f32_e32 v8, v26, v67
	s_waitcnt vmcnt(3) lgkmcnt(1)
	v_mul_f32_e32 v14, v44, v77
	v_fmac_f32_e32 v55, v10, v64
	v_fma_f32 v126, v27, v66, -v8
	ds_read2_b64 v[8:11], v38 offset0:84 offset1:174
	v_fma_f32 v128, v45, v76, -v14
	s_waitcnt lgkmcnt(1)
	v_mul_f32_e32 v129, v49, v79
	v_mul_f32_e32 v14, v48, v79
	;; [unrolled: 1-line block ×3, first 2 shown]
	v_fmac_f32_e32 v129, v48, v78
	v_fma_f32 v48, v49, v78, -v14
	s_waitcnt vmcnt(2)
	v_mul_f32_e32 v49, v47, v81
	v_mul_f32_e32 v14, v46, v81
	v_fmac_f32_e32 v127, v44, v76
	v_fmac_f32_e32 v49, v46, v80
	v_fma_f32 v130, v47, v80, -v14
	ds_read2_b64 v[44:47], v33 offset0:88 offset1:178
	s_waitcnt vmcnt(1) lgkmcnt(1)
	v_mul_f32_e32 v132, v9, v111
	v_fmac_f32_e32 v132, v8, v110
	v_mul_f32_e32 v8, v8, v111
	v_fma_f32 v110, v9, v110, -v8
	s_waitcnt lgkmcnt(0)
	v_mul_f32_e32 v111, v45, v113
	v_mul_f32_e32 v8, v44, v113
	v_fmac_f32_e32 v111, v44, v112
	v_fma_f32 v44, v45, v112, -v8
	s_waitcnt vmcnt(0)
	v_mul_f32_e32 v8, v10, v115
	v_mul_f32_e32 v113, v47, v117
	;; [unrolled: 1-line block ×4, first 2 shown]
	v_fma_f32 v112, v11, v114, -v8
	v_fmac_f32_e32 v113, v46, v116
	v_mul_f32_e32 v8, v46, v117
	v_add_f32_e32 v46, v18, v118
	v_fmac_f32_e32 v131, v50, v82
	v_fma_f32 v50, v51, v82, -v14
	v_add_f32_e32 v82, v46, v57
	v_add_f32_e32 v46, v118, v57
	v_fma_f32 v18, -0.5, v46, v18
	v_sub_f32_e32 v46, v56, v60
	v_mov_b32_e32 v78, v18
	v_fmac_f32_e32 v78, 0xbf5db3d7, v46
	v_fmac_f32_e32 v18, 0x3f5db3d7, v46
	v_add_f32_e32 v46, v19, v56
	v_add_f32_e32 v83, v46, v60
	v_add_f32_e32 v46, v56, v60
	v_fmac_f32_e32 v19, -0.5, v46
	v_sub_f32_e32 v46, v118, v57
	v_mov_b32_e32 v79, v19
	v_fmac_f32_e32 v79, 0x3f5db3d7, v46
	v_fmac_f32_e32 v19, 0xbf5db3d7, v46
	v_add_f32_e32 v46, v22, v61
	v_add_f32_e32 v80, v46, v59
	v_add_f32_e32 v46, v61, v59
	v_fma_f32 v22, -0.5, v46, v22
	v_sub_f32_e32 v46, v58, v62
	v_mov_b32_e32 v76, v22
	v_fmac_f32_e32 v76, 0xbf5db3d7, v46
	v_fmac_f32_e32 v22, 0x3f5db3d7, v46
	v_add_f32_e32 v46, v23, v58
	v_add_f32_e32 v81, v46, v62
	v_add_f32_e32 v46, v58, v62
	v_fmac_f32_e32 v23, -0.5, v46
	v_sub_f32_e32 v46, v61, v59
	v_mov_b32_e32 v77, v23
	v_fmac_f32_e32 v77, 0x3f5db3d7, v46
	v_fmac_f32_e32 v23, 0xbf5db3d7, v46
	v_add_f32_e32 v46, v12, v63
	;; [unrolled: 16-line block ×3, first 2 shown]
	v_add_f32_e32 v70, v46, v121
	v_add_f32_e32 v46, v119, v121
	v_fma_f32 v16, -0.5, v46, v16
	v_sub_f32_e32 v46, v120, v122
	v_mov_b32_e32 v68, v16
	v_fmac_f32_e32 v68, 0xbf5db3d7, v46
	v_fmac_f32_e32 v16, 0x3f5db3d7, v46
	v_add_f32_e32 v46, v17, v120
	v_mul_f32_e32 v125, v27, v67
	v_mul_f32_e32 v45, v11, v115
	v_add_f32_e32 v71, v46, v122
	v_add_f32_e32 v46, v120, v122
	v_fmac_f32_e32 v125, v26, v66
	v_fmac_f32_e32 v45, v10, v114
	ds_read_b64 v[24:25], v103
	ds_read_b64 v[26:27], v102
	;; [unrolled: 1-line block ×4, first 2 shown]
	v_fmac_f32_e32 v17, -0.5, v46
	v_sub_f32_e32 v46, v119, v121
	v_mov_b32_e32 v69, v17
	v_fmac_f32_e32 v69, 0x3f5db3d7, v46
	v_fmac_f32_e32 v17, 0xbf5db3d7, v46
	s_waitcnt lgkmcnt(3)
	v_add_f32_e32 v46, v24, v123
	v_add_f32_e32 v64, v46, v53
	;; [unrolled: 1-line block ×3, first 2 shown]
	v_fma_f32 v24, -0.5, v46, v24
	v_sub_f32_e32 v46, v52, v54
	v_mov_b32_e32 v58, v24
	v_fmac_f32_e32 v58, 0xbf5db3d7, v46
	v_fmac_f32_e32 v24, 0x3f5db3d7, v46
	v_add_f32_e32 v46, v25, v52
	v_add_f32_e32 v65, v46, v54
	;; [unrolled: 1-line block ×3, first 2 shown]
	v_fmac_f32_e32 v25, -0.5, v46
	v_sub_f32_e32 v46, v123, v53
	v_mov_b32_e32 v59, v25
	v_fmac_f32_e32 v59, 0x3f5db3d7, v46
	v_fmac_f32_e32 v25, 0xbf5db3d7, v46
	s_waitcnt lgkmcnt(2)
	v_add_f32_e32 v46, v26, v55
	v_add_f32_e32 v66, v46, v125
	;; [unrolled: 1-line block ×3, first 2 shown]
	v_fma_f32 v26, -0.5, v46, v26
	v_sub_f32_e32 v46, v124, v126
	v_mov_b32_e32 v62, v26
	v_fma_f32 v114, v47, v116, -v8
	ds_read_b64 v[20:21], v92
	ds_read_b64 v[8:9], v91
	v_fmac_f32_e32 v62, 0xbf5db3d7, v46
	v_fmac_f32_e32 v26, 0x3f5db3d7, v46
	v_add_f32_e32 v46, v27, v124
	v_add_f32_e32 v67, v46, v126
	;; [unrolled: 1-line block ×3, first 2 shown]
	v_fmac_f32_e32 v27, -0.5, v46
	v_sub_f32_e32 v46, v55, v125
	v_mov_b32_e32 v63, v27
	v_fmac_f32_e32 v63, 0x3f5db3d7, v46
	v_fmac_f32_e32 v27, 0xbf5db3d7, v46
	s_waitcnt lgkmcnt(1)
	v_add_f32_e32 v46, v20, v127
	v_add_f32_e32 v60, v46, v129
	;; [unrolled: 1-line block ×3, first 2 shown]
	v_fma_f32 v20, -0.5, v46, v20
	v_sub_f32_e32 v46, v128, v48
	v_mov_b32_e32 v56, v20
	v_fmac_f32_e32 v56, 0xbf5db3d7, v46
	v_fmac_f32_e32 v20, 0x3f5db3d7, v46
	v_add_f32_e32 v46, v21, v128
	v_add_f32_e32 v61, v46, v48
	;; [unrolled: 1-line block ×3, first 2 shown]
	v_fmac_f32_e32 v21, -0.5, v46
	v_sub_f32_e32 v46, v127, v129
	v_mov_b32_e32 v57, v21
	v_fmac_f32_e32 v57, 0x3f5db3d7, v46
	v_fmac_f32_e32 v21, 0xbf5db3d7, v46
	v_add_f32_e32 v46, v14, v49
	v_add_f32_e32 v54, v46, v131
	;; [unrolled: 1-line block ×3, first 2 shown]
	v_fma_f32 v14, -0.5, v46, v14
	v_sub_f32_e32 v46, v130, v50
	v_mov_b32_e32 v52, v14
	v_fmac_f32_e32 v52, 0xbf5db3d7, v46
	v_fmac_f32_e32 v14, 0x3f5db3d7, v46
	v_add_f32_e32 v46, v15, v130
	v_add_f32_e32 v55, v46, v50
	;; [unrolled: 1-line block ×3, first 2 shown]
	v_fmac_f32_e32 v15, -0.5, v46
	v_sub_f32_e32 v46, v49, v131
	v_mov_b32_e32 v53, v15
	v_fmac_f32_e32 v53, 0x3f5db3d7, v46
	v_fmac_f32_e32 v15, 0xbf5db3d7, v46
	v_add_f32_e32 v46, v10, v132
	v_add_f32_e32 v50, v46, v111
	;; [unrolled: 1-line block ×3, first 2 shown]
	v_fma_f32 v10, -0.5, v46, v10
	v_sub_f32_e32 v46, v110, v44
	v_mov_b32_e32 v48, v10
	v_fmac_f32_e32 v48, 0xbf5db3d7, v46
	v_fmac_f32_e32 v10, 0x3f5db3d7, v46
	v_add_f32_e32 v46, v11, v110
	v_add_f32_e32 v51, v46, v44
	;; [unrolled: 1-line block ×3, first 2 shown]
	v_fmac_f32_e32 v11, -0.5, v44
	v_sub_f32_e32 v44, v132, v111
	v_mov_b32_e32 v49, v11
	s_waitcnt lgkmcnt(0)
	s_barrier
	ds_write_b64 v84, v[82:83]
	ds_write_b64 v84, v[78:79] offset:2400
	ds_write_b64 v84, v[18:19] offset:4800
	ds_write_b64 v89, v[80:81]
	ds_write_b64 v89, v[76:77] offset:2400
	ds_write_b64 v89, v[22:23] offset:4800
	;; [unrolled: 3-line block ×3, first 2 shown]
	v_mov_b32_e32 v12, 0x1c20
	v_fmac_f32_e32 v49, 0x3f5db3d7, v44
	v_fmac_f32_e32 v11, 0xbf5db3d7, v44
	v_add_f32_e32 v44, v8, v45
	v_cndmask_b32_e32 v12, 0, v12, vcc
	v_lshlrev_b32_e32 v13, 3, v109
	v_add_f32_e32 v46, v44, v113
	v_add_f32_e32 v44, v45, v113
	v_add3_u32 v12, 0, v12, v13
	v_fma_f32 v8, -0.5, v44, v8
	ds_write_b64 v12, v[70:71]
	ds_write_b64 v12, v[68:69] offset:2400
	ds_write_b64 v12, v[16:17] offset:4800
	v_mul_u32_u24_e32 v12, 0x1c20, v107
	v_lshlrev_b32_e32 v13, 3, v108
	v_sub_f32_e32 v47, v112, v114
	v_mov_b32_e32 v44, v8
	v_add_f32_e32 v110, v112, v114
	v_add_u32_e32 v18, 0x1c00, v84
	v_add3_u32 v12, 0, v12, v13
	v_fmac_f32_e32 v44, 0xbf5db3d7, v47
	v_fmac_f32_e32 v8, 0x3f5db3d7, v47
	v_add_f32_e32 v47, v9, v112
	v_fmac_f32_e32 v9, -0.5, v110
	ds_write2_b64 v18, v[64:65], v[66:67] offset0:64 offset1:154
	ds_write2_b64 v96, v[58:59], v[62:63] offset0:108 offset1:198
	;; [unrolled: 1-line block ×3, first 2 shown]
	ds_write_b64 v12, v[60:61]
	ds_write_b64 v12, v[56:57] offset:2400
	ds_write_b64 v12, v[20:21] offset:4800
	v_lshl_add_u32 v12, v106, 3, 0
	v_add_f32_e32 v47, v47, v114
	v_sub_f32_e32 v110, v45, v113
	v_mov_b32_e32 v45, v9
	ds_write_b64 v12, v[54:55] offset:14400
	ds_write_b64 v12, v[52:53] offset:16800
	ds_write_b64 v12, v[14:15] offset:19200
	ds_write_b64 v0, v[50:51] offset:14400
	ds_write_b64 v0, v[48:49] offset:16800
	ds_write_b64 v0, v[10:11] offset:19200
	v_lshl_add_u32 v0, v105, 3, 0
	v_add_co_u32_e32 v6, vcc, s4, v6
	v_fmac_f32_e32 v45, 0x3f5db3d7, v110
	v_fmac_f32_e32 v9, 0xbf5db3d7, v110
	ds_write_b64 v0, v[46:47] offset:14400
	ds_write_b64 v0, v[44:45] offset:16800
	;; [unrolled: 1-line block ×3, first 2 shown]
	v_addc_co_u32_e32 v7, vcc, 0, v7, vcc
	v_lshlrev_b32_e32 v0, 1, v42
	v_add_co_u32_e32 v4, vcc, s4, v4
	v_lshlrev_b64 v[10:11], 3, v[0:1]
	v_addc_co_u32_e32 v5, vcc, 0, v5, vcc
	v_add_co_u32_e32 v0, vcc, s8, v10
	v_addc_co_u32_e32 v11, vcc, v104, v11, vcc
	v_add_co_u32_e32 v10, vcc, s4, v0
	;; [unrolled: 2-line block ×3, first 2 shown]
	v_addc_co_u32_e32 v3, vcc, 0, v3, vcc
	v_lshlrev_b32_e32 v0, 1, v37
	s_waitcnt lgkmcnt(0)
	s_barrier
	global_load_dwordx4 v[14:17], v[6:7], off offset:3080
	ds_read_b64 v[12:13], v84
	ds_read_b64 v[26:27], v84 offset:7200
	ds_read2_b64 v[22:25], v93 offset0:8 offset1:98
	ds_read2_b32 v[117:118], v18 offset0:188 offset1:189
	ds_read2_b64 v[18:21], v94 offset0:56 offset1:146
	ds_read2_b64 v[44:47], v95 offset0:60 offset1:150
	ds_read_b64 v[8:9], v89
	ds_read_b64 v[6:7], v87
	ds_read2_b64 v[48:51], v96 offset0:108 offset1:198
	ds_read2_b64 v[52:55], v97 offset0:112 offset1:202
	;; [unrolled: 1-line block ×4, first 2 shown]
	global_load_dwordx4 v[64:67], v[10:11], off offset:3080
	global_load_dwordx4 v[68:71], v[4:5], off offset:3080
	;; [unrolled: 1-line block ×3, first 2 shown]
	v_lshlrev_b64 v[2:3], 3, v[0:1]
	v_add_co_u32_e32 v0, vcc, s8, v2
	v_addc_co_u32_e32 v3, vcc, v104, v3, vcc
	v_add_co_u32_e32 v2, vcc, s4, v0
	v_lshlrev_b32_e32 v0, 1, v39
	v_lshlrev_b64 v[4:5], 3, v[0:1]
	v_addc_co_u32_e32 v3, vcc, 0, v3, vcc
	v_add_co_u32_e32 v0, vcc, s8, v4
	v_addc_co_u32_e32 v5, vcc, v104, v5, vcc
	v_add_co_u32_e32 v4, vcc, s4, v0
	v_lshlrev_b32_e32 v0, 1, v41
	v_addc_co_u32_e32 v5, vcc, 0, v5, vcc
	global_load_dwordx4 v[76:79], v[2:3], off offset:3080
	global_load_dwordx4 v[80:83], v[4:5], off offset:3080
	v_lshlrev_b64 v[2:3], 3, v[0:1]
	v_add_co_u32_e32 v0, vcc, s8, v2
	v_addc_co_u32_e32 v3, vcc, v104, v3, vcc
	v_add_co_u32_e32 v2, vcc, s4, v0
	v_addc_co_u32_e32 v3, vcc, 0, v3, vcc
	v_lshlrev_b32_e32 v0, 1, v36
	global_load_dwordx4 v[93:96], v[2:3], off offset:3080
	v_lshlrev_b64 v[2:3], 3, v[0:1]
	v_add_co_u32_e32 v0, vcc, s8, v2
	v_addc_co_u32_e32 v3, vcc, v104, v3, vcc
	v_add_co_u32_e32 v2, vcc, s4, v0
	v_addc_co_u32_e32 v3, vcc, 0, v3, vcc
	v_lshlrev_b32_e32 v0, 1, v35
	;; [unrolled: 7-line block ×3, first 2 shown]
	global_load_dwordx4 v[109:112], v[2:3], off offset:3080
	v_lshlrev_b64 v[2:3], 3, v[0:1]
	v_add_co_u32_e32 v0, vcc, s8, v2
	v_addc_co_u32_e32 v3, vcc, v104, v3, vcc
	v_add_co_u32_e32 v2, vcc, s4, v0
	v_addc_co_u32_e32 v3, vcc, 0, v3, vcc
	global_load_dwordx4 v[113:116], v[2:3], off offset:3080
	v_cmp_ne_u32_e32 vcc, 0, v28
	s_waitcnt vmcnt(9) lgkmcnt(6)
	v_mul_f32_e32 v2, v44, v17
	v_fma_f32 v99, v45, v16, -v2
	s_waitcnt vmcnt(8)
	v_mul_f32_e32 v104, v21, v65
	v_mul_f32_e32 v2, v20, v65
	v_fmac_f32_e32 v104, v20, v64
	v_fma_f32 v119, v21, v64, -v2
	s_waitcnt vmcnt(7)
	v_mul_f32_e32 v64, v69, v27
	v_mul_f32_e32 v4, v69, v26
	;; [unrolled: 1-line block ×4, first 2 shown]
	v_fmac_f32_e32 v64, v68, v26
	v_fma_f32 v26, v68, v27, -v4
	v_mul_f32_e32 v27, v71, v23
	v_mul_f32_e32 v97, v19, v15
	;; [unrolled: 1-line block ×4, first 2 shown]
	v_fmac_f32_e32 v120, v46, v66
	v_fma_f32 v121, v47, v66, -v2
	v_fmac_f32_e32 v27, v70, v22
	v_mul_f32_e32 v4, v71, v22
	s_waitcnt vmcnt(6)
	v_mul_f32_e32 v66, v25, v75
	v_mul_f32_e32 v22, v24, v75
	v_fmac_f32_e32 v97, v18, v14
	v_fma_f32 v0, v19, v14, -v0
	v_fmac_f32_e32 v98, v44, v16
	ds_read_b64 v[20:21], v88
	ds_read_b64 v[18:19], v103
	;; [unrolled: 1-line block ×5, first 2 shown]
	v_fma_f32 v65, v70, v23, -v4
	ds_read_b64 v[14:15], v92
	ds_read_b64 v[4:5], v100
	v_fmac_f32_e32 v66, v24, v74
	v_fma_f32 v67, v25, v74, -v22
	ds_read2_b64 v[22:25], v38 offset0:84 offset1:174
	v_mul_f32_e32 v38, v118, v73
	v_mul_f32_e32 v44, v73, v117
	v_fmac_f32_e32 v38, v72, v117
	v_fma_f32 v68, v118, v72, -v44
	s_waitcnt vmcnt(5) lgkmcnt(11)
	v_mul_f32_e32 v117, v49, v77
	v_mul_f32_e32 v44, v48, v77
	v_fmac_f32_e32 v117, v48, v76
	v_fma_f32 v48, v49, v76, -v44
	s_waitcnt lgkmcnt(10)
	v_mul_f32_e32 v49, v53, v79
	v_mul_f32_e32 v44, v52, v79
	v_fmac_f32_e32 v49, v52, v78
	v_fma_f32 v52, v53, v78, -v44
	ds_read2_b64 v[44:47], v33 offset0:88 offset1:178
	s_waitcnt vmcnt(4)
	v_mul_f32_e32 v33, v51, v81
	v_fmac_f32_e32 v33, v50, v80
	v_mul_f32_e32 v50, v50, v81
	v_fma_f32 v50, v51, v80, -v50
	v_mul_f32_e32 v51, v55, v83
	v_fmac_f32_e32 v51, v54, v82
	v_mul_f32_e32 v53, v54, v83
	s_waitcnt vmcnt(3) lgkmcnt(10)
	v_mul_f32_e32 v54, v56, v94
	v_fma_f32 v79, v57, v93, -v54
	s_waitcnt lgkmcnt(9)
	v_mul_f32_e32 v54, v60, v96
	v_fma_f32 v53, v55, v82, -v53
	v_fma_f32 v81, v61, v95, -v54
	s_waitcnt vmcnt(2)
	v_mul_f32_e32 v82, v59, v106
	v_mul_f32_e32 v54, v58, v106
	v_fmac_f32_e32 v82, v58, v105
	v_fma_f32 v83, v59, v105, -v54
	v_mul_f32_e32 v78, v57, v94
	v_fmac_f32_e32 v78, v56, v93
	v_mul_f32_e32 v93, v63, v108
	v_mul_f32_e32 v54, v62, v108
	v_fmac_f32_e32 v93, v62, v107
	v_fma_f32 v94, v63, v107, -v54
	v_mul_f32_e32 v80, v61, v96
	v_fmac_f32_e32 v80, v60, v95
	s_waitcnt vmcnt(1) lgkmcnt(1)
	v_mul_f32_e32 v95, v23, v110
	v_fmac_f32_e32 v95, v22, v109
	v_mul_f32_e32 v22, v22, v110
	v_fma_f32 v22, v23, v109, -v22
	s_waitcnt vmcnt(0)
	v_mul_f32_e32 v105, v25, v114
	v_fmac_f32_e32 v105, v24, v113
	v_mul_f32_e32 v24, v24, v114
	v_fma_f32 v106, v25, v113, -v24
	s_waitcnt lgkmcnt(0)
	v_mul_f32_e32 v24, v46, v116
	v_fma_f32 v108, v47, v115, -v24
	v_add_f32_e32 v24, v12, v64
	v_add_f32_e32 v76, v24, v27
	;; [unrolled: 1-line block ×3, first 2 shown]
	v_fma_f32 v12, -0.5, v24, v12
	v_sub_f32_e32 v24, v26, v65
	v_mov_b32_e32 v72, v12
	v_fmac_f32_e32 v72, 0xbf5db3d7, v24
	v_fmac_f32_e32 v12, 0x3f5db3d7, v24
	v_add_f32_e32 v24, v13, v26
	v_add_f32_e32 v77, v24, v65
	;; [unrolled: 1-line block ×3, first 2 shown]
	v_fmac_f32_e32 v13, -0.5, v24
	v_sub_f32_e32 v24, v64, v27
	v_mov_b32_e32 v73, v13
	v_fmac_f32_e32 v73, 0x3f5db3d7, v24
	v_fmac_f32_e32 v13, 0xbf5db3d7, v24
	v_add_f32_e32 v24, v8, v38
	v_add_f32_e32 v74, v24, v66
	;; [unrolled: 1-line block ×3, first 2 shown]
	v_fma_f32 v8, -0.5, v24, v8
	v_sub_f32_e32 v24, v68, v67
	v_mov_b32_e32 v70, v8
	v_fmac_f32_e32 v70, 0xbf5db3d7, v24
	v_fmac_f32_e32 v8, 0x3f5db3d7, v24
	v_add_f32_e32 v24, v9, v68
	v_add_f32_e32 v75, v24, v67
	;; [unrolled: 1-line block ×3, first 2 shown]
	v_fmac_f32_e32 v9, -0.5, v24
	v_sub_f32_e32 v24, v38, v66
	v_mov_b32_e32 v71, v9
	v_fmac_f32_e32 v71, 0x3f5db3d7, v24
	v_fmac_f32_e32 v9, 0xbf5db3d7, v24
	v_add_f32_e32 v24, v20, v97
	v_add_f32_e32 v68, v24, v98
	;; [unrolled: 1-line block ×3, first 2 shown]
	v_fma_f32 v20, -0.5, v24, v20
	v_sub_f32_e32 v24, v0, v99
	v_mov_b32_e32 v66, v20
	v_fmac_f32_e32 v66, 0xbf5db3d7, v24
	v_fmac_f32_e32 v20, 0x3f5db3d7, v24
	v_add_f32_e32 v24, v21, v0
	v_add_f32_e32 v0, v0, v99
	v_fmac_f32_e32 v21, -0.5, v0
	v_sub_f32_e32 v0, v97, v98
	v_mov_b32_e32 v67, v21
	v_fmac_f32_e32 v67, 0x3f5db3d7, v0
	v_fmac_f32_e32 v21, 0xbf5db3d7, v0
	v_add_f32_e32 v0, v6, v104
	v_add_f32_e32 v64, v0, v120
	v_add_f32_e32 v0, v104, v120
	v_fma_f32 v6, -0.5, v0, v6
	v_sub_f32_e32 v0, v119, v121
	v_mov_b32_e32 v62, v6
	v_fmac_f32_e32 v62, 0xbf5db3d7, v0
	v_fmac_f32_e32 v6, 0x3f5db3d7, v0
	v_add_f32_e32 v0, v7, v119
	v_add_f32_e32 v65, v0, v121
	v_add_f32_e32 v0, v119, v121
	v_fmac_f32_e32 v7, -0.5, v0
	v_sub_f32_e32 v0, v104, v120
	v_mov_b32_e32 v63, v7
	v_fmac_f32_e32 v63, 0x3f5db3d7, v0
	v_fmac_f32_e32 v7, 0xbf5db3d7, v0
	v_add_f32_e32 v0, v18, v117
	v_add_f32_e32 v60, v0, v49
	v_add_f32_e32 v0, v117, v49
	v_fma_f32 v18, -0.5, v0, v18
	v_sub_f32_e32 v0, v48, v52
	v_mov_b32_e32 v58, v18
	v_fmac_f32_e32 v58, 0xbf5db3d7, v0
	v_fmac_f32_e32 v18, 0x3f5db3d7, v0
	v_add_f32_e32 v0, v19, v48
	;; [unrolled: 16-line block ×4, first 2 shown]
	v_add_f32_e32 v53, v0, v81
	v_add_f32_e32 v0, v79, v81
	v_fmac_f32_e32 v15, -0.5, v0
	v_sub_f32_e32 v0, v78, v80
	v_mov_b32_e32 v51, v15
	v_fmac_f32_e32 v51, 0x3f5db3d7, v0
	v_fmac_f32_e32 v15, 0xbf5db3d7, v0
	v_add_f32_e32 v0, v10, v82
	v_add_f32_e32 v48, v0, v93
	;; [unrolled: 1-line block ×3, first 2 shown]
	v_mul_f32_e32 v107, v47, v116
	v_fma_f32 v10, -0.5, v0, v10
	v_fmac_f32_e32 v107, v46, v115
	v_sub_f32_e32 v0, v83, v94
	v_mov_b32_e32 v46, v10
	v_fmac_f32_e32 v46, 0xbf5db3d7, v0
	v_fmac_f32_e32 v10, 0x3f5db3d7, v0
	v_add_f32_e32 v0, v11, v83
	v_add_f32_e32 v49, v0, v94
	;; [unrolled: 1-line block ×3, first 2 shown]
	v_fmac_f32_e32 v11, -0.5, v0
	v_mul_f32_e32 v23, v45, v112
	v_sub_f32_e32 v0, v82, v93
	v_mov_b32_e32 v47, v11
	v_fmac_f32_e32 v23, v44, v111
	v_mul_f32_e32 v44, v44, v112
	v_fmac_f32_e32 v47, 0x3f5db3d7, v0
	v_fmac_f32_e32 v11, 0xbf5db3d7, v0
	v_add_f32_e32 v0, v4, v95
	v_fma_f32 v96, v45, v111, -v44
	v_add_f32_e32 v44, v0, v23
	v_add_f32_e32 v0, v95, v23
	v_fma_f32 v4, -0.5, v0, v4
	v_sub_f32_e32 v0, v22, v96
	v_mov_b32_e32 v26, v4
	v_fmac_f32_e32 v26, 0xbf5db3d7, v0
	v_fmac_f32_e32 v4, 0x3f5db3d7, v0
	v_add_f32_e32 v0, v5, v22
	v_add_f32_e32 v45, v0, v96
	;; [unrolled: 1-line block ×3, first 2 shown]
	v_fmac_f32_e32 v5, -0.5, v0
	v_sub_f32_e32 v0, v95, v23
	v_mov_b32_e32 v27, v5
	v_fmac_f32_e32 v27, 0x3f5db3d7, v0
	v_fmac_f32_e32 v5, 0xbf5db3d7, v0
	v_add_f32_e32 v0, v2, v105
	v_add_f32_e32 v69, v24, v99
	;; [unrolled: 1-line block ×4, first 2 shown]
	v_fma_f32 v2, -0.5, v0, v2
	v_sub_f32_e32 v0, v106, v108
	v_mov_b32_e32 v22, v2
	v_fmac_f32_e32 v22, 0xbf5db3d7, v0
	v_fmac_f32_e32 v2, 0x3f5db3d7, v0
	v_add_f32_e32 v0, v3, v106
	v_add_f32_e32 v25, v0, v108
	;; [unrolled: 1-line block ×3, first 2 shown]
	v_fmac_f32_e32 v3, -0.5, v0
	v_sub_f32_e32 v0, v105, v107
	v_mov_b32_e32 v23, v3
	v_fmac_f32_e32 v3, 0xbf5db3d7, v0
	v_fmac_f32_e32 v23, 0x3f5db3d7, v0
	s_barrier
	ds_write_b64 v84, v[76:77]
	ds_write_b64 v84, v[72:73] offset:7200
	ds_write_b64 v84, v[12:13] offset:14400
	ds_write_b64 v89, v[74:75]
	ds_write_b64 v89, v[70:71] offset:7200
	ds_write_b64 v89, v[8:9] offset:14400
	;; [unrolled: 3-line block ×10, first 2 shown]
	s_waitcnt lgkmcnt(0)
	s_barrier
	ds_read_b64 v[3:4], v84
	v_sub_u32_e32 v0, 0, v29
                                        ; implicit-def: $vgpr2
                                        ; implicit-def: $vgpr7
	s_and_saveexec_b64 s[4:5], vcc
	s_xor_b64 s[4:5], exec, s[4:5]
	s_cbranch_execz .LBB0_15
; %bb.14:
	v_mov_b32_e32 v29, v1
	v_lshlrev_b64 v[1:2], 3, v[28:29]
	v_mov_b32_e32 v5, s7
	v_add_co_u32_e32 v1, vcc, s6, v1
	v_addc_co_u32_e32 v2, vcc, v5, v2, vcc
	global_load_dwordx2 v[5:6], v[1:2], off
	ds_read_b64 v[1:2], v0 offset:21600
	s_waitcnt lgkmcnt(0)
	v_add_f32_e32 v8, v1, v3
	v_sub_f32_e32 v1, v3, v1
	v_add_f32_e32 v7, v2, v4
	v_sub_f32_e32 v2, v4, v2
	v_mul_f32_e32 v4, 0.5, v1
	v_mul_f32_e32 v1, 0.5, v2
	;; [unrolled: 1-line block ×3, first 2 shown]
	s_waitcnt vmcnt(0)
	v_mul_f32_e32 v2, v6, v4
	v_fma_f32 v9, 0.5, v8, v2
	v_fma_f32 v7, v3, v6, v1
	v_fma_f32 v6, v3, v6, -v1
	v_fma_f32 v1, v8, 0.5, -v2
	v_fmac_f32_e32 v9, v5, v3
	v_fma_f32 v7, -v5, v4, v7
	v_fma_f32 v1, -v5, v3, v1
	ds_write_b32 v84, v9
	v_fma_f32 v2, -v5, v4, v6
                                        ; implicit-def: $vgpr3_vgpr4
.LBB0_15:
	s_or_saveexec_b64 s[4:5], s[4:5]
	v_sub_u32_e32 v6, 0, v90
	v_sub_u32_e32 v5, 0, v40
	s_xor_b64 exec, exec, s[4:5]
	s_cbranch_execz .LBB0_17
; %bb.16:
	v_mov_b32_e32 v7, 0
	ds_read_b32 v2, v7 offset:10804
	s_waitcnt lgkmcnt(1)
	v_add_f32_e32 v8, v3, v4
	v_sub_f32_e32 v1, v3, v4
	ds_write_b32 v84, v8
	s_waitcnt lgkmcnt(1)
	v_xor_b32_e32 v2, 0x80000000, v2
	ds_write_b32 v7, v2 offset:10804
	v_mov_b32_e32 v2, v7
.LBB0_17:
	s_or_b64 exec, exec, s[4:5]
	v_mov_b32_e32 v33, 0
	s_waitcnt lgkmcnt(0)
	v_lshlrev_b64 v[3:4], 3, v[32:33]
	v_mov_b32_e32 v8, s7
	v_add_co_u32_e32 v3, vcc, s6, v3
	v_addc_co_u32_e32 v4, vcc, v8, v4, vcc
	global_load_dwordx2 v[3:4], v[3:4], off
	v_mov_b32_e32 v44, v33
	v_lshlrev_b64 v[8:9], 3, v[43:44]
	v_mov_b32_e32 v10, s7
	v_add_co_u32_e32 v8, vcc, s6, v8
	v_addc_co_u32_e32 v9, vcc, v10, v9, vcc
	global_load_dwordx2 v[8:9], v[8:9], off
	v_mov_b32_e32 v43, v33
	;; [unrolled: 6-line block ×3, first 2 shown]
	v_lshlrev_b64 v[14:15], 3, v[37:38]
	ds_write_b32 v84, v7 offset:4
	ds_write_b64 v0, v[1:2] offset:21600
	v_mov_b32_e32 v7, s7
	v_add_co_u32_e32 v14, vcc, s6, v14
	v_addc_co_u32_e32 v15, vcc, v7, v15, vcc
	ds_read_b64 v[1:2], v89
	ds_read_b64 v[12:13], v0 offset:20880
	global_load_dwordx2 v[14:15], v[14:15], off
	v_mov_b32_e32 v40, v33
	v_lshlrev_b64 v[16:17], 3, v[39:40]
	v_mov_b32_e32 v20, s7
	s_waitcnt lgkmcnt(0)
	v_add_f32_e32 v7, v1, v12
	v_sub_f32_e32 v1, v1, v12
	v_add_f32_e32 v22, v2, v13
	v_sub_f32_e32 v2, v2, v13
	v_mul_f32_e32 v13, 0.5, v1
	v_mul_f32_e32 v12, 0.5, v22
	;; [unrolled: 1-line block ×3, first 2 shown]
	v_mov_b32_e32 v42, v33
	v_lshlrev_b64 v[18:19], 3, v[41:42]
	v_mov_b32_e32 v21, s7
	v_mov_b32_e32 v37, v33
	v_add_u32_e32 v6, v86, v6
	v_add_u32_e32 v32, 0x384, v28
	s_waitcnt vmcnt(3)
	v_mul_f32_e32 v22, v4, v13
	v_fma_f32 v2, v12, v4, v1
	v_fma_f32 v4, v12, v4, -v1
	v_fma_f32 v1, 0.5, v7, v22
	v_fma_f32 v2, -v3, v13, v2
	v_fma_f32 v7, v7, 0.5, -v22
	v_fmac_f32_e32 v1, v3, v12
	v_fma_f32 v4, -v3, v13, v4
	v_fma_f32 v3, -v3, v12, v7
	ds_write_b64 v89, v[1:2]
	ds_write_b64 v0, v[3:4] offset:20880
	ds_read_b64 v[1:2], v88
	ds_read_b64 v[3:4], v0 offset:20160
	v_add_co_u32_e32 v12, vcc, s6, v16
	v_addc_co_u32_e32 v13, vcc, v20, v17, vcc
	global_load_dwordx2 v[12:13], v[12:13], off
	s_waitcnt lgkmcnt(0)
	v_add_f32_e32 v7, v1, v3
	v_sub_f32_e32 v1, v1, v3
	v_add_f32_e32 v16, v2, v4
	v_sub_f32_e32 v2, v2, v4
	v_mul_f32_e32 v4, 0.5, v1
	v_mul_f32_e32 v3, 0.5, v16
	;; [unrolled: 1-line block ×3, first 2 shown]
	s_waitcnt vmcnt(3)
	v_mul_f32_e32 v16, v9, v4
	v_fma_f32 v2, v3, v9, v1
	v_fma_f32 v9, v3, v9, -v1
	v_fma_f32 v1, 0.5, v7, v16
	v_fma_f32 v2, -v8, v4, v2
	v_fma_f32 v7, v7, 0.5, -v16
	v_fmac_f32_e32 v1, v8, v3
	v_fma_f32 v4, -v8, v4, v9
	v_fma_f32 v3, -v8, v3, v7
	ds_write_b64 v88, v[1:2]
	ds_write_b64 v0, v[3:4] offset:20160
	ds_read_b64 v[1:2], v87
	ds_read_b64 v[3:4], v0 offset:19440
	v_add_co_u32_e32 v7, vcc, s6, v18
	v_addc_co_u32_e32 v8, vcc, v21, v19, vcc
	global_load_dwordx2 v[7:8], v[7:8], off
	s_waitcnt lgkmcnt(0)
	v_add_f32_e32 v9, v1, v3
	v_sub_f32_e32 v1, v1, v3
	v_add_f32_e32 v16, v2, v4
	v_sub_f32_e32 v2, v2, v4
	v_mul_f32_e32 v4, 0.5, v1
	v_mul_f32_e32 v3, 0.5, v16
	;; [unrolled: 1-line block ×3, first 2 shown]
	s_waitcnt vmcnt(3)
	v_mul_f32_e32 v16, v11, v4
	v_fma_f32 v2, v3, v11, v1
	v_fma_f32 v11, v3, v11, -v1
	v_fma_f32 v1, 0.5, v9, v16
	v_fma_f32 v2, -v10, v4, v2
	v_fma_f32 v9, v9, 0.5, -v16
	v_fmac_f32_e32 v1, v10, v3
	v_fma_f32 v4, -v10, v4, v11
	v_fma_f32 v3, -v10, v3, v9
	ds_write_b64 v87, v[1:2]
	ds_write_b64 v0, v[3:4] offset:19440
	ds_read_b64 v[1:2], v103
	ds_read_b64 v[3:4], v0 offset:18720
	s_waitcnt lgkmcnt(0)
	v_add_f32_e32 v9, v1, v3
	v_sub_f32_e32 v1, v1, v3
	v_add_f32_e32 v10, v2, v4
	v_sub_f32_e32 v2, v2, v4
	v_mul_f32_e32 v4, 0.5, v1
	v_mul_f32_e32 v3, 0.5, v10
	;; [unrolled: 1-line block ×3, first 2 shown]
	s_waitcnt vmcnt(2)
	v_mul_f32_e32 v11, v15, v4
	v_fma_f32 v1, 0.5, v9, v11
	v_fma_f32 v2, v3, v15, v10
	v_fmac_f32_e32 v1, v14, v3
	v_fma_f32 v2, -v14, v4, v2
	ds_write_b64 v103, v[1:2]
	v_fma_f32 v1, v9, 0.5, -v11
	v_fma_f32 v2, v3, v15, -v10
	v_fma_f32 v1, -v14, v3, v1
	v_fma_f32 v2, -v14, v4, v2
	v_lshlrev_b64 v[3:4], 3, v[36:37]
	v_mov_b32_e32 v9, s7
	v_add_co_u32_e32 v3, vcc, s6, v3
	v_addc_co_u32_e32 v4, vcc, v9, v4, vcc
	global_load_dwordx2 v[3:4], v[3:4], off
	ds_write_b64 v0, v[1:2] offset:18720
	ds_read_b64 v[1:2], v102
	ds_read_b64 v[9:10], v0 offset:18000
	v_mov_b32_e32 v36, v33
	s_waitcnt lgkmcnt(0)
	v_add_f32_e32 v11, v1, v9
	v_add_f32_e32 v14, v2, v10
	v_sub_f32_e32 v1, v1, v9
	v_sub_f32_e32 v2, v2, v10
	v_mul_f32_e32 v15, 0.5, v1
	v_mul_f32_e32 v16, 0.5, v2
	v_lshlrev_b64 v[1:2], 3, v[35:36]
	v_mul_f32_e32 v14, 0.5, v14
	v_mov_b32_e32 v9, s7
	v_add_co_u32_e32 v1, vcc, s6, v1
	s_waitcnt vmcnt(2)
	v_mul_f32_e32 v17, v13, v15
	v_addc_co_u32_e32 v2, vcc, v9, v2, vcc
	v_fma_f32 v9, 0.5, v11, v17
	v_fma_f32 v10, v14, v13, v16
	v_fmac_f32_e32 v9, v12, v14
	v_fma_f32 v10, -v12, v15, v10
	ds_write_b64 v102, v[9:10]
	v_fma_f32 v9, v11, 0.5, -v17
	v_fma_f32 v10, v14, v13, -v16
	global_load_dwordx2 v[1:2], v[1:2], off
	v_fma_f32 v9, -v12, v14, v9
	v_fma_f32 v10, -v12, v15, v10
	ds_write_b64 v0, v[9:10] offset:18000
	ds_read_b64 v[9:10], v6
	ds_read_b64 v[11:12], v0 offset:17280
	v_mov_b32_e32 v35, v33
	s_waitcnt lgkmcnt(0)
	v_add_f32_e32 v13, v9, v11
	v_sub_f32_e32 v9, v9, v11
	v_add_f32_e32 v14, v10, v12
	v_sub_f32_e32 v10, v10, v12
	v_mul_f32_e32 v11, 0.5, v9
	v_mul_f32_e32 v14, 0.5, v14
	;; [unrolled: 1-line block ×3, first 2 shown]
	s_waitcnt vmcnt(2)
	v_mul_f32_e32 v15, v8, v11
	v_fma_f32 v9, 0.5, v13, v15
	v_fma_f32 v10, v14, v8, v12
	v_fmac_f32_e32 v9, v7, v14
	v_fma_f32 v10, -v7, v11, v10
	ds_write_b64 v6, v[9:10]
	v_fma_f32 v6, v13, 0.5, -v15
	v_fma_f32 v8, v14, v8, -v12
	v_fma_f32 v6, -v7, v14, v6
	v_fma_f32 v7, -v7, v11, v8
	v_lshlrev_b64 v[10:11], 3, v[34:35]
	v_mov_b32_e32 v13, s7
	v_add_co_u32_e32 v10, vcc, s6, v10
	ds_write_b64 v0, v[6:7] offset:17280
	v_addc_co_u32_e32 v11, vcc, v13, v11, vcc
	ds_read_b64 v[6:7], v101
	ds_read_b64 v[8:9], v0 offset:16560
	global_load_dwordx2 v[10:11], v[10:11], off
	s_waitcnt lgkmcnt(0)
	v_add_f32_e32 v12, v6, v8
	v_sub_f32_e32 v6, v6, v8
	v_add_f32_e32 v13, v7, v9
	v_sub_f32_e32 v7, v7, v9
	v_mul_f32_e32 v8, 0.5, v6
	v_mul_f32_e32 v13, 0.5, v13
	;; [unrolled: 1-line block ×3, first 2 shown]
	s_waitcnt vmcnt(2)
	v_mul_f32_e32 v14, v4, v8
	v_fma_f32 v6, 0.5, v12, v14
	v_fma_f32 v7, v13, v4, v9
	v_fmac_f32_e32 v6, v3, v13
	v_fma_f32 v7, -v3, v8, v7
	v_fma_f32 v4, v13, v4, -v9
	ds_write_b64 v101, v[6:7]
	v_fma_f32 v7, -v3, v8, v4
	v_lshlrev_b64 v[8:9], 3, v[32:33]
	v_fma_f32 v6, v12, 0.5, -v14
	v_fma_f32 v6, -v3, v13, v6
	v_mov_b32_e32 v13, s7
	v_add_co_u32_e32 v8, vcc, s6, v8
	ds_write_b64 v0, v[6:7] offset:16560
	v_addc_co_u32_e32 v9, vcc, v13, v9, vcc
	ds_read_b64 v[3:4], v100
	ds_read_b64 v[6:7], v0 offset:15840
	global_load_dwordx2 v[8:9], v[8:9], off
	v_add_u32_e32 v32, 0x3de, v28
	s_waitcnt lgkmcnt(0)
	v_add_f32_e32 v12, v3, v6
	v_sub_f32_e32 v3, v3, v6
	v_add_f32_e32 v13, v4, v7
	v_sub_f32_e32 v4, v4, v7
	v_mul_f32_e32 v6, 0.5, v3
	v_mul_f32_e32 v13, 0.5, v13
	;; [unrolled: 1-line block ×3, first 2 shown]
	s_waitcnt vmcnt(2)
	v_mul_f32_e32 v14, v2, v6
	v_fma_f32 v3, 0.5, v12, v14
	v_fma_f32 v4, v13, v2, v7
	v_fmac_f32_e32 v3, v1, v13
	v_fma_f32 v4, -v1, v6, v4
	v_fma_f32 v2, v13, v2, -v7
	ds_write_b64 v100, v[3:4]
	v_fma_f32 v4, -v1, v6, v2
	v_add_u32_e32 v7, v85, v5
	v_lshlrev_b64 v[5:6], 3, v[32:33]
	v_fma_f32 v3, v12, 0.5, -v14
	v_fma_f32 v3, -v1, v13, v3
	v_mov_b32_e32 v12, s7
	v_add_co_u32_e32 v5, vcc, s6, v5
	ds_write_b64 v0, v[3:4] offset:15840
	v_addc_co_u32_e32 v6, vcc, v12, v6, vcc
	ds_read_b64 v[1:2], v7
	ds_read_b64 v[3:4], v0 offset:15120
	global_load_dwordx2 v[5:6], v[5:6], off
	v_add_u32_e32 v32, 0x438, v28
	s_waitcnt lgkmcnt(0)
	v_add_f32_e32 v12, v1, v3
	v_add_f32_e32 v13, v2, v4
	v_sub_f32_e32 v1, v1, v3
	v_sub_f32_e32 v2, v2, v4
	v_mul_f32_e32 v14, 0.5, v1
	v_mul_f32_e32 v15, 0.5, v2
	v_lshlrev_b64 v[1:2], 3, v[32:33]
	v_mul_f32_e32 v13, 0.5, v13
	v_mov_b32_e32 v3, s7
	v_add_co_u32_e32 v1, vcc, s6, v1
	s_waitcnt vmcnt(2)
	v_mul_f32_e32 v16, v11, v14
	v_addc_co_u32_e32 v2, vcc, v3, v2, vcc
	global_load_dwordx2 v[1:2], v[1:2], off
	v_fma_f32 v3, 0.5, v12, v16
	v_fma_f32 v4, v13, v11, v15
	v_fmac_f32_e32 v3, v10, v13
	v_fma_f32 v4, -v10, v14, v4
	ds_write_b64 v7, v[3:4]
	v_fma_f32 v3, v12, 0.5, -v16
	v_fma_f32 v4, v13, v11, -v15
	v_fma_f32 v3, -v10, v13, v3
	v_fma_f32 v4, -v10, v14, v4
	ds_write_b64 v0, v[3:4] offset:15120
	ds_read_b64 v[3:4], v84 offset:7200
	ds_read_b64 v[10:11], v0 offset:14400
	v_add_u32_e32 v32, 0x492, v28
	s_waitcnt lgkmcnt(0)
	v_add_f32_e32 v12, v4, v11
	v_mul_f32_e32 v14, 0.5, v12
	v_lshlrev_b64 v[12:13], 3, v[32:33]
	v_add_f32_e32 v7, v3, v10
	v_sub_f32_e32 v3, v3, v10
	v_mov_b32_e32 v10, s7
	v_add_co_u32_e32 v12, vcc, s6, v12
	v_addc_co_u32_e32 v13, vcc, v10, v13, vcc
	global_load_dwordx2 v[12:13], v[12:13], off
	v_sub_f32_e32 v4, v4, v11
	v_mul_f32_e32 v10, 0.5, v3
	v_mul_f32_e32 v11, 0.5, v4
	v_add_u32_e32 v32, 0x4ec, v28
	s_waitcnt vmcnt(3)
	v_mul_f32_e32 v15, v9, v10
	v_fma_f32 v3, 0.5, v7, v15
	v_fma_f32 v4, v14, v9, v11
	v_fmac_f32_e32 v3, v8, v14
	v_fma_f32 v4, -v8, v10, v4
	ds_write_b64 v84, v[3:4] offset:7200
	v_fma_f32 v4, v14, v9, -v11
	v_fma_f32 v4, -v8, v10, v4
	v_lshlrev_b64 v[9:10], 3, v[32:33]
	v_fma_f32 v3, v7, 0.5, -v15
	v_fma_f32 v3, -v8, v14, v3
	v_mov_b32_e32 v11, s7
	v_add_co_u32_e32 v9, vcc, s6, v9
	ds_write_b64 v0, v[3:4] offset:14400
	v_addc_co_u32_e32 v10, vcc, v11, v10, vcc
	ds_read_b64 v[3:4], v84 offset:7920
	ds_read_b64 v[7:8], v0 offset:13680
	global_load_dwordx2 v[9:10], v[9:10], off
	s_waitcnt lgkmcnt(0)
	v_add_f32_e32 v11, v3, v7
	v_sub_f32_e32 v3, v3, v7
	v_add_f32_e32 v14, v4, v8
	v_sub_f32_e32 v4, v4, v8
	v_mul_f32_e32 v7, 0.5, v3
	v_mul_f32_e32 v14, 0.5, v14
	v_mul_f32_e32 v8, 0.5, v4
	s_waitcnt vmcnt(3)
	v_mul_f32_e32 v15, v6, v7
	v_fma_f32 v3, 0.5, v11, v15
	v_fma_f32 v4, v14, v6, v8
	v_fmac_f32_e32 v3, v5, v14
	v_fma_f32 v4, -v5, v7, v4
	ds_write_b64 v84, v[3:4] offset:7920
	v_fma_f32 v3, v11, 0.5, -v15
	v_fma_f32 v4, v14, v6, -v8
	v_fma_f32 v3, -v5, v14, v3
	v_fma_f32 v4, -v5, v7, v4
	ds_write_b64 v0, v[3:4] offset:13680
	ds_read_b64 v[3:4], v84 offset:8640
	ds_read_b64 v[5:6], v0 offset:12960
	s_waitcnt lgkmcnt(0)
	v_add_f32_e32 v7, v3, v5
	v_sub_f32_e32 v3, v3, v5
	v_add_f32_e32 v8, v4, v6
	v_sub_f32_e32 v4, v4, v6
	v_mul_f32_e32 v5, 0.5, v3
	v_mul_f32_e32 v8, 0.5, v8
	v_mul_f32_e32 v6, 0.5, v4
	s_waitcnt vmcnt(2)
	v_mul_f32_e32 v11, v2, v5
	v_fma_f32 v3, 0.5, v7, v11
	v_fma_f32 v4, v8, v2, v6
	v_fmac_f32_e32 v3, v1, v8
	v_fma_f32 v4, -v1, v5, v4
	ds_write_b64 v84, v[3:4] offset:8640
	v_fma_f32 v3, v7, 0.5, -v11
	v_fma_f32 v2, v8, v2, -v6
	v_fma_f32 v3, -v1, v8, v3
	v_fma_f32 v4, -v1, v5, v2
	ds_write_b64 v0, v[3:4] offset:12960
	ds_read_b64 v[1:2], v84 offset:9360
	ds_read_b64 v[3:4], v0 offset:12240
	;; [unrolled: 22-line block ×3, first 2 shown]
	s_waitcnt lgkmcnt(0)
	v_add_f32_e32 v5, v1, v3
	v_sub_f32_e32 v1, v1, v3
	v_add_f32_e32 v6, v2, v4
	v_sub_f32_e32 v2, v2, v4
	v_mul_f32_e32 v3, 0.5, v1
	v_mul_f32_e32 v6, 0.5, v6
	;; [unrolled: 1-line block ×3, first 2 shown]
	s_waitcnt vmcnt(0)
	v_mul_f32_e32 v7, v10, v3
	v_fma_f32 v1, 0.5, v5, v7
	v_fma_f32 v2, v6, v10, v4
	v_fmac_f32_e32 v1, v9, v6
	v_fma_f32 v2, -v9, v3, v2
	ds_write_b64 v84, v[1:2] offset:10080
	v_fma_f32 v1, v5, 0.5, -v7
	v_fma_f32 v2, v6, v10, -v4
	v_fma_f32 v1, -v9, v6, v1
	v_fma_f32 v2, -v9, v3, v2
	ds_write_b64 v0, v[1:2] offset:11520
	s_waitcnt lgkmcnt(0)
	s_barrier
	s_and_saveexec_b64 s[4:5], s[0:1]
	s_cbranch_execz .LBB0_20
; %bb.18:
	v_mov_b32_e32 v29, v33
	v_mov_b32_e32 v0, s3
	v_add_co_u32_e32 v1, vcc, s2, v30
	v_lshlrev_b64 v[6:7], 3, v[28:29]
	ds_read2_b64 v[2:5], v84 offset1:90
	v_addc_co_u32_e32 v0, vcc, v0, v31, vcc
	v_add_co_u32_e32 v14, vcc, v1, v6
	v_add_u32_e32 v6, 0x400, v84
	v_addc_co_u32_e32 v15, vcc, v0, v7, vcc
	ds_read2_b64 v[6:9], v6 offset0:52 offset1:142
	v_add_u32_e32 v10, 0x800, v84
	ds_read2_b64 v[10:13], v10 offset0:104 offset1:194
	s_waitcnt lgkmcnt(2)
	global_store_dwordx2 v[14:15], v[2:3], off
	global_store_dwordx2 v[14:15], v[4:5], off offset:720
	s_waitcnt lgkmcnt(1)
	global_store_dwordx2 v[14:15], v[6:7], off offset:1440
	global_store_dwordx2 v[14:15], v[8:9], off offset:2160
	s_waitcnt lgkmcnt(0)
	global_store_dwordx2 v[14:15], v[10:11], off offset:2880
	global_store_dwordx2 v[14:15], v[12:13], off offset:3600
	v_add_u32_e32 v2, 0x1000, v84
	ds_read2_b64 v[2:5], v2 offset0:28 offset1:118
	v_add_u32_e32 v6, 0x1400, v84
	s_movk_i32 s0, 0x1000
	ds_read2_b64 v[6:9], v6 offset0:80 offset1:170
	v_add_co_u32_e32 v16, vcc, s0, v14
	v_add_u32_e32 v10, 0x1800, v84
	v_addc_co_u32_e32 v17, vcc, 0, v15, vcc
	ds_read2_b64 v[10:13], v10 offset0:132 offset1:222
	s_waitcnt lgkmcnt(2)
	global_store_dwordx2 v[16:17], v[2:3], off offset:224
	global_store_dwordx2 v[16:17], v[4:5], off offset:944
	s_waitcnt lgkmcnt(1)
	global_store_dwordx2 v[16:17], v[6:7], off offset:1664
	global_store_dwordx2 v[16:17], v[8:9], off offset:2384
	s_waitcnt lgkmcnt(0)
	global_store_dwordx2 v[16:17], v[10:11], off offset:3104
	global_store_dwordx2 v[16:17], v[12:13], off offset:3824
	v_add_u32_e32 v2, 0x2000, v84
	ds_read2_b64 v[2:5], v2 offset0:56 offset1:146
	v_add_u32_e32 v6, 0x2400, v84
	s_movk_i32 s0, 0x2000
	ds_read2_b64 v[6:9], v6 offset0:108 offset1:198
	v_add_co_u32_e32 v16, vcc, s0, v14
	v_add_u32_e32 v10, 0x2800, v84
	v_addc_co_u32_e32 v17, vcc, 0, v15, vcc
	ds_read2_b64 v[10:13], v10 offset0:160 offset1:250
	s_waitcnt lgkmcnt(2)
	global_store_dwordx2 v[16:17], v[2:3], off offset:448
	global_store_dwordx2 v[16:17], v[4:5], off offset:1168
	s_waitcnt lgkmcnt(1)
	global_store_dwordx2 v[16:17], v[6:7], off offset:1888
	global_store_dwordx2 v[16:17], v[8:9], off offset:2608
	s_waitcnt lgkmcnt(0)
	global_store_dwordx2 v[16:17], v[10:11], off offset:3328
	global_store_dwordx2 v[16:17], v[12:13], off offset:4048
	v_add_u32_e32 v2, 0x3000, v84
	ds_read2_b64 v[2:5], v2 offset0:84 offset1:174
	v_add_u32_e32 v6, 0x3800, v84
	s_movk_i32 s0, 0x3000
	ds_read2_b64 v[6:9], v6 offset0:8 offset1:98
	v_add_co_u32_e32 v16, vcc, s0, v14
	v_add_u32_e32 v10, 0x3c00, v84
	v_addc_co_u32_e32 v17, vcc, 0, v15, vcc
	ds_read2_b64 v[10:13], v10 offset0:60 offset1:150
	s_waitcnt lgkmcnt(2)
	global_store_dwordx2 v[16:17], v[2:3], off offset:672
	global_store_dwordx2 v[16:17], v[4:5], off offset:1392
	s_waitcnt lgkmcnt(1)
	global_store_dwordx2 v[16:17], v[6:7], off offset:2112
	global_store_dwordx2 v[16:17], v[8:9], off offset:2832
	s_waitcnt lgkmcnt(0)
	global_store_dwordx2 v[16:17], v[10:11], off offset:3552
	v_add_u32_e32 v2, 0x4000, v84
	s_movk_i32 s0, 0x4000
	ds_read2_b64 v[2:5], v2 offset0:112 offset1:202
	v_add_co_u32_e32 v16, vcc, s0, v14
	v_add_u32_e32 v6, 0x4800, v84
	v_addc_co_u32_e32 v17, vcc, 0, v15, vcc
	ds_read2_b64 v[6:9], v6 offset0:36 offset1:126
	v_add_u32_e32 v10, 0x4c00, v84
	global_store_dwordx2 v[16:17], v[12:13], off offset:176
	ds_read2_b64 v[10:13], v10 offset0:88 offset1:178
	s_waitcnt lgkmcnt(2)
	global_store_dwordx2 v[16:17], v[2:3], off offset:896
	global_store_dwordx2 v[16:17], v[4:5], off offset:1616
	s_waitcnt lgkmcnt(1)
	global_store_dwordx2 v[16:17], v[6:7], off offset:2336
	global_store_dwordx2 v[16:17], v[8:9], off offset:3056
	s_waitcnt lgkmcnt(0)
	global_store_dwordx2 v[16:17], v[10:11], off offset:3776
	v_add_co_u32_e32 v2, vcc, 0x5000, v14
	v_addc_co_u32_e32 v3, vcc, 0, v15, vcc
	s_movk_i32 s0, 0x59
	v_cmp_eq_u32_e32 vcc, s0, v28
	global_store_dwordx2 v[2:3], v[12:13], off offset:400
	s_and_b64 exec, exec, vcc
	s_cbranch_execz .LBB0_20
; %bb.19:
	v_mov_b32_e32 v2, 0
	ds_read_b64 v[2:3], v2 offset:21600
	v_add_co_u32_e32 v4, vcc, 0x5000, v1
	v_addc_co_u32_e32 v5, vcc, 0, v0, vcc
	s_waitcnt lgkmcnt(0)
	global_store_dwordx2 v[4:5], v[2:3], off offset:1120
.LBB0_20:
	s_endpgm
	.section	.rodata,"a",@progbits
	.p2align	6, 0x0
	.amdhsa_kernel fft_rtc_back_len2700_factors_3_10_10_3_3_wgs_90_tpt_90_halfLds_sp_ip_CI_unitstride_sbrr_R2C_dirReg
		.amdhsa_group_segment_fixed_size 0
		.amdhsa_private_segment_fixed_size 0
		.amdhsa_kernarg_size 88
		.amdhsa_user_sgpr_count 6
		.amdhsa_user_sgpr_private_segment_buffer 1
		.amdhsa_user_sgpr_dispatch_ptr 0
		.amdhsa_user_sgpr_queue_ptr 0
		.amdhsa_user_sgpr_kernarg_segment_ptr 1
		.amdhsa_user_sgpr_dispatch_id 0
		.amdhsa_user_sgpr_flat_scratch_init 0
		.amdhsa_user_sgpr_private_segment_size 0
		.amdhsa_uses_dynamic_stack 0
		.amdhsa_system_sgpr_private_segment_wavefront_offset 0
		.amdhsa_system_sgpr_workgroup_id_x 1
		.amdhsa_system_sgpr_workgroup_id_y 0
		.amdhsa_system_sgpr_workgroup_id_z 0
		.amdhsa_system_sgpr_workgroup_info 0
		.amdhsa_system_vgpr_workitem_id 0
		.amdhsa_next_free_vgpr 133
		.amdhsa_next_free_sgpr 22
		.amdhsa_reserve_vcc 1
		.amdhsa_reserve_flat_scratch 0
		.amdhsa_float_round_mode_32 0
		.amdhsa_float_round_mode_16_64 0
		.amdhsa_float_denorm_mode_32 3
		.amdhsa_float_denorm_mode_16_64 3
		.amdhsa_dx10_clamp 1
		.amdhsa_ieee_mode 1
		.amdhsa_fp16_overflow 0
		.amdhsa_exception_fp_ieee_invalid_op 0
		.amdhsa_exception_fp_denorm_src 0
		.amdhsa_exception_fp_ieee_div_zero 0
		.amdhsa_exception_fp_ieee_overflow 0
		.amdhsa_exception_fp_ieee_underflow 0
		.amdhsa_exception_fp_ieee_inexact 0
		.amdhsa_exception_int_div_zero 0
	.end_amdhsa_kernel
	.text
.Lfunc_end0:
	.size	fft_rtc_back_len2700_factors_3_10_10_3_3_wgs_90_tpt_90_halfLds_sp_ip_CI_unitstride_sbrr_R2C_dirReg, .Lfunc_end0-fft_rtc_back_len2700_factors_3_10_10_3_3_wgs_90_tpt_90_halfLds_sp_ip_CI_unitstride_sbrr_R2C_dirReg
                                        ; -- End function
	.section	.AMDGPU.csdata,"",@progbits
; Kernel info:
; codeLenInByte = 18640
; NumSgprs: 26
; NumVgprs: 133
; ScratchSize: 0
; MemoryBound: 0
; FloatMode: 240
; IeeeMode: 1
; LDSByteSize: 0 bytes/workgroup (compile time only)
; SGPRBlocks: 3
; VGPRBlocks: 33
; NumSGPRsForWavesPerEU: 26
; NumVGPRsForWavesPerEU: 133
; Occupancy: 1
; WaveLimiterHint : 1
; COMPUTE_PGM_RSRC2:SCRATCH_EN: 0
; COMPUTE_PGM_RSRC2:USER_SGPR: 6
; COMPUTE_PGM_RSRC2:TRAP_HANDLER: 0
; COMPUTE_PGM_RSRC2:TGID_X_EN: 1
; COMPUTE_PGM_RSRC2:TGID_Y_EN: 0
; COMPUTE_PGM_RSRC2:TGID_Z_EN: 0
; COMPUTE_PGM_RSRC2:TIDIG_COMP_CNT: 0
	.type	__hip_cuid_89da49cd81d7c97d,@object ; @__hip_cuid_89da49cd81d7c97d
	.section	.bss,"aw",@nobits
	.globl	__hip_cuid_89da49cd81d7c97d
__hip_cuid_89da49cd81d7c97d:
	.byte	0                               ; 0x0
	.size	__hip_cuid_89da49cd81d7c97d, 1

	.ident	"AMD clang version 19.0.0git (https://github.com/RadeonOpenCompute/llvm-project roc-6.4.0 25133 c7fe45cf4b819c5991fe208aaa96edf142730f1d)"
	.section	".note.GNU-stack","",@progbits
	.addrsig
	.addrsig_sym __hip_cuid_89da49cd81d7c97d
	.amdgpu_metadata
---
amdhsa.kernels:
  - .args:
      - .actual_access:  read_only
        .address_space:  global
        .offset:         0
        .size:           8
        .value_kind:     global_buffer
      - .offset:         8
        .size:           8
        .value_kind:     by_value
      - .actual_access:  read_only
        .address_space:  global
        .offset:         16
        .size:           8
        .value_kind:     global_buffer
      - .actual_access:  read_only
        .address_space:  global
        .offset:         24
        .size:           8
        .value_kind:     global_buffer
      - .offset:         32
        .size:           8
        .value_kind:     by_value
      - .actual_access:  read_only
        .address_space:  global
        .offset:         40
        .size:           8
        .value_kind:     global_buffer
      - .actual_access:  read_only
        .address_space:  global
        .offset:         48
        .size:           8
        .value_kind:     global_buffer
      - .offset:         56
        .size:           4
        .value_kind:     by_value
      - .actual_access:  read_only
        .address_space:  global
        .offset:         64
        .size:           8
        .value_kind:     global_buffer
      - .actual_access:  read_only
        .address_space:  global
        .offset:         72
        .size:           8
        .value_kind:     global_buffer
      - .address_space:  global
        .offset:         80
        .size:           8
        .value_kind:     global_buffer
    .group_segment_fixed_size: 0
    .kernarg_segment_align: 8
    .kernarg_segment_size: 88
    .language:       OpenCL C
    .language_version:
      - 2
      - 0
    .max_flat_workgroup_size: 90
    .name:           fft_rtc_back_len2700_factors_3_10_10_3_3_wgs_90_tpt_90_halfLds_sp_ip_CI_unitstride_sbrr_R2C_dirReg
    .private_segment_fixed_size: 0
    .sgpr_count:     26
    .sgpr_spill_count: 0
    .symbol:         fft_rtc_back_len2700_factors_3_10_10_3_3_wgs_90_tpt_90_halfLds_sp_ip_CI_unitstride_sbrr_R2C_dirReg.kd
    .uniform_work_group_size: 1
    .uses_dynamic_stack: false
    .vgpr_count:     133
    .vgpr_spill_count: 0
    .wavefront_size: 64
amdhsa.target:   amdgcn-amd-amdhsa--gfx906
amdhsa.version:
  - 1
  - 2
...

	.end_amdgpu_metadata
